;; amdgpu-corpus repo=ROCm/rocFFT kind=compiled arch=gfx1201 opt=O3
	.text
	.amdgcn_target "amdgcn-amd-amdhsa--gfx1201"
	.amdhsa_code_object_version 6
	.protected	bluestein_single_fwd_len195_dim1_dp_op_CI_CI ; -- Begin function bluestein_single_fwd_len195_dim1_dp_op_CI_CI
	.globl	bluestein_single_fwd_len195_dim1_dp_op_CI_CI
	.p2align	8
	.type	bluestein_single_fwd_len195_dim1_dp_op_CI_CI,@function
bluestein_single_fwd_len195_dim1_dp_op_CI_CI: ; @bluestein_single_fwd_len195_dim1_dp_op_CI_CI
; %bb.0:
	s_load_b128 s[12:15], s[0:1], 0x28
	v_mul_u32_u24_e32 v1, 0x13b2, v0
	v_mov_b32_e32 v7, 0
	s_mov_b32 s2, exec_lo
	s_delay_alu instid0(VALU_DEP_2) | instskip(NEXT) | instid1(VALU_DEP_1)
	v_lshrrev_b32_e32 v5, 16, v1
	v_lshl_add_u32 v6, ttmp9, 2, v5
	s_wait_kmcnt 0x0
	s_delay_alu instid0(VALU_DEP_1)
	v_cmpx_gt_u64_e64 s[12:13], v[6:7]
	s_cbranch_execz .LBB0_15
; %bb.1:
	s_clause 0x1
	s_load_b128 s[4:7], s[0:1], 0x18
	s_load_b64 s[12:13], s[0:1], 0x0
	v_mul_lo_u16 v1, v5, 13
	v_and_b32_e32 v5, 3, v5
	v_mov_b32_e32 v7, v6
	s_delay_alu instid0(VALU_DEP_3) | instskip(NEXT) | instid1(VALU_DEP_3)
	v_sub_nc_u16 v4, v0, v1
	v_mul_u32_u24_e32 v5, 0xc3, v5
	scratch_store_b64 off, v[7:8], off offset:208 ; 8-byte Folded Spill
	v_and_b32_e32 v230, 0xffff, v4
	v_lshlrev_b32_e32 v5, 4, v5
	s_delay_alu instid0(VALU_DEP_2)
	v_lshlrev_b32_e32 v224, 4, v230
	s_wait_kmcnt 0x0
	s_load_b128 s[8:11], s[4:5], 0x0
	s_clause 0x9
	global_load_b128 v[40:43], v224, s[12:13]
	global_load_b128 v[44:47], v224, s[12:13] offset:240
	global_load_b128 v[48:51], v224, s[12:13] offset:480
	;; [unrolled: 1-line block ×9, first 2 shown]
	v_add_nc_u32_e32 v255, v5, v224
	s_wait_kmcnt 0x0
	v_mad_co_u64_u32 v[0:1], null, s10, v6, 0
	v_mad_co_u64_u32 v[2:3], null, s8, v230, 0
	s_mul_u64 s[2:3], s[8:9], 0xf0
	s_delay_alu instid0(VALU_DEP_1) | instskip(NEXT) | instid1(VALU_DEP_2)
	v_mad_co_u64_u32 v[6:7], null, s11, v6, v[1:2]
	v_mad_co_u64_u32 v[7:8], null, s9, v230, v[3:4]
	s_delay_alu instid0(VALU_DEP_2) | instskip(NEXT) | instid1(VALU_DEP_2)
	v_mov_b32_e32 v1, v6
	v_mov_b32_e32 v3, v7
	s_delay_alu instid0(VALU_DEP_2) | instskip(NEXT) | instid1(VALU_DEP_2)
	v_lshlrev_b64_e32 v[0:1], 4, v[0:1]
	v_lshlrev_b64_e32 v[6:7], 4, v[2:3]
	s_delay_alu instid0(VALU_DEP_2) | instskip(NEXT) | instid1(VALU_DEP_3)
	v_add_co_u32 v2, vcc_lo, s14, v0
	v_add_co_ci_u32_e32 v3, vcc_lo, s15, v1, vcc_lo
	s_delay_alu instid0(VALU_DEP_2) | instskip(SKIP_1) | instid1(VALU_DEP_2)
	v_add_co_u32 v0, vcc_lo, v2, v6
	s_wait_alu 0xfffd
	v_add_co_ci_u32_e32 v1, vcc_lo, v3, v7, vcc_lo
	s_delay_alu instid0(VALU_DEP_2) | instskip(SKIP_1) | instid1(VALU_DEP_2)
	v_add_co_u32 v10, vcc_lo, v0, s2
	s_wait_alu 0xfffd
	;; [unrolled: 4-line block ×3, first 2 shown]
	v_add_co_ci_u32_e32 v15, vcc_lo, s3, v11, vcc_lo
	s_clause 0x1
	global_load_b128 v[6:9], v[0:1], off
	global_load_b128 v[10:13], v[10:11], off
	v_add_co_u32 v18, vcc_lo, v14, s2
	s_wait_alu 0xfffd
	v_add_co_ci_u32_e32 v19, vcc_lo, s3, v15, vcc_lo
	s_clause 0x1
	global_load_b128 v[14:17], v[14:15], off
	global_load_b128 v[52:55], v[18:19], off
	v_add_co_u32 v0, vcc_lo, v18, s2
	s_wait_alu 0xfffd
	v_add_co_ci_u32_e32 v1, vcc_lo, s3, v19, vcc_lo
	s_delay_alu instid0(VALU_DEP_2) | instskip(SKIP_1) | instid1(VALU_DEP_2)
	v_add_co_u32 v18, vcc_lo, v0, s2
	s_wait_alu 0xfffd
	v_add_co_ci_u32_e32 v19, vcc_lo, s3, v1, vcc_lo
	global_load_b128 v[56:59], v[0:1], off
	v_add_co_u32 v0, vcc_lo, v18, s2
	s_wait_alu 0xfffd
	v_add_co_ci_u32_e32 v1, vcc_lo, s3, v19, vcc_lo
	global_load_b128 v[60:63], v[18:19], off
	;; [unrolled: 4-line block ×3, first 2 shown]
	v_add_co_u32 v0, vcc_lo, v18, s2
	global_load_b128 v[68:71], v[18:19], off
	s_wait_alu 0xfffd
	v_add_co_ci_u32_e32 v1, vcc_lo, s3, v19, vcc_lo
	v_add_co_u32 v18, vcc_lo, v0, s2
	s_wait_alu 0xfffd
	s_delay_alu instid0(VALU_DEP_2)
	v_add_co_ci_u32_e32 v19, vcc_lo, s3, v1, vcc_lo
	global_load_b128 v[72:75], v[0:1], off
	v_add_co_u32 v0, vcc_lo, v18, s2
	s_wait_alu 0xfffd
	v_add_co_ci_u32_e32 v1, vcc_lo, s3, v19, vcc_lo
	global_load_b128 v[76:79], v[18:19], off
	v_add_co_u32 v18, vcc_lo, v0, s2
	s_wait_alu 0xfffd
	;; [unrolled: 4-line block ×3, first 2 shown]
	v_add_co_ci_u32_e32 v1, vcc_lo, s3, v19, vcc_lo
	s_clause 0x1
	global_load_b128 v[154:157], v224, s[12:13] offset:2400
	global_load_b128 v[150:153], v224, s[12:13] offset:2640
	global_load_b128 v[84:87], v[18:19], off
	global_load_b128 v[158:161], v224, s[12:13] offset:2880
	global_load_b128 v[88:91], v[0:1], off
	v_cmp_gt_u16_e32 vcc_lo, 2, v4
	v_or_b32_e32 v4, 28, v230
	v_add_co_u32 v228, s2, s12, v224
	s_wait_alu 0xf1ff
	v_add_co_ci_u32_e64 v229, null, s13, 0, s2
	s_wait_loadcnt 0x19
	scratch_store_b128 off, v[40:43], off offset:48 ; 16-byte Folded Spill
	s_wait_loadcnt 0x18
	scratch_store_b128 off, v[44:47], off offset:64 ; 16-byte Folded Spill
	s_wait_loadcnt 0x17
	scratch_store_b128 off, v[48:51], off offset:80 ; 16-byte Folded Spill
	s_wait_loadcnt 0x16
	scratch_store_b128 off, v[122:125], off offset:96 ; 16-byte Folded Spill
	s_wait_loadcnt 0x15
	scratch_store_b128 off, v[126:129], off offset:112 ; 16-byte Folded Spill
	s_wait_loadcnt 0x14
	scratch_store_b128 off, v[130:133], off offset:128 ; 16-byte Folded Spill
	s_wait_loadcnt 0x13
	scratch_store_b128 off, v[134:137], off offset:144 ; 16-byte Folded Spill
	s_wait_loadcnt 0x12
	scratch_store_b128 off, v[138:141], off offset:160 ; 16-byte Folded Spill
	s_wait_loadcnt 0x11
	scratch_store_b128 off, v[142:145], off offset:176 ; 16-byte Folded Spill
	s_wait_loadcnt 0x10
	scratch_store_b128 off, v[146:149], off offset:192 ; 16-byte Folded Spill
	s_wait_loadcnt 0xf
	v_mul_f64_e32 v[18:19], v[8:9], v[42:43]
	v_mul_f64_e32 v[20:21], v[6:7], v[42:43]
	s_wait_loadcnt 0xe
	v_mul_f64_e32 v[22:23], v[12:13], v[46:47]
	v_mul_f64_e32 v[24:25], v[10:11], v[46:47]
	;; [unrolled: 3-line block ×8, first 2 shown]
	v_fma_f64 v[6:7], v[6:7], v[40:41], v[18:19]
	s_wait_loadcnt 0x7
	v_mul_f64_e32 v[102:103], v[74:75], v[144:145]
	v_mul_f64_e32 v[104:105], v[72:73], v[144:145]
	v_fma_f64 v[8:9], v[8:9], v[40:41], -v[20:21]
	v_fma_f64 v[10:11], v[10:11], v[44:45], v[22:23]
	v_fma_f64 v[12:13], v[12:13], v[44:45], -v[24:25]
	s_wait_loadcnt 0x6
	v_mul_f64_e32 v[106:107], v[78:79], v[148:149]
	v_mul_f64_e32 v[108:109], v[76:77], v[148:149]
	v_fma_f64 v[14:15], v[14:15], v[48:49], v[26:27]
	v_fma_f64 v[16:17], v[16:17], v[48:49], -v[28:29]
	v_fma_f64 v[52:53], v[52:53], v[122:123], v[30:31]
	v_fma_f64 v[54:55], v[54:55], v[122:123], -v[32:33]
	s_wait_loadcnt 0x4
	v_mul_f64_e32 v[110:111], v[82:83], v[156:157]
	v_mul_f64_e32 v[112:113], v[80:81], v[156:157]
	s_wait_loadcnt 0x2
	v_mul_f64_e32 v[114:115], v[86:87], v[152:153]
	v_mul_f64_e32 v[116:117], v[84:85], v[152:153]
	;; [unrolled: 3-line block ×3, first 2 shown]
	v_fma_f64 v[56:57], v[56:57], v[126:127], v[34:35]
	v_fma_f64 v[58:59], v[58:59], v[126:127], -v[36:37]
	s_clause 0x2
	scratch_store_b128 off, v[154:157], off offset:232
	scratch_store_b128 off, v[150:153], off offset:216
	scratch_store_b128 off, v[158:161], off offset:248
	v_fma_f64 v[60:61], v[60:61], v[130:131], v[38:39]
	v_fma_f64 v[62:63], v[62:63], v[130:131], -v[92:93]
	s_load_b64 s[10:11], s[0:1], 0x38
	s_load_b128 s[4:7], s[6:7], 0x0
	v_mov_b32_e32 v40, v5
	v_fma_f64 v[64:65], v[64:65], v[134:135], v[94:95]
	v_fma_f64 v[66:67], v[66:67], v[134:135], -v[96:97]
	v_fma_f64 v[68:69], v[68:69], v[138:139], v[98:99]
	v_fma_f64 v[70:71], v[70:71], v[138:139], -v[100:101]
	ds_store_b128 v255, v[6:9]
	ds_store_b128 v255, v[10:13] offset:240
	ds_store_b128 v255, v[14:17] offset:480
	;; [unrolled: 1-line block ×7, first 2 shown]
	v_fma_f64 v[72:73], v[72:73], v[142:143], v[102:103]
	v_fma_f64 v[74:75], v[74:75], v[142:143], -v[104:105]
	v_fma_f64 v[76:77], v[76:77], v[146:147], v[106:107]
	v_fma_f64 v[78:79], v[78:79], v[146:147], -v[108:109]
	;; [unrolled: 2-line block ×5, first 2 shown]
	scratch_store_b32 off, v4, off offset:284 ; 4-byte Folded Spill
	v_or_b32_e32 v4, 58, v230
	scratch_store_b32 off, v4, off offset:280 ; 4-byte Folded Spill
	v_or_b32_e32 v4, 0x58, v230
	;; [unrolled: 2-line block ×5, first 2 shown]
	scratch_store_b32 off, v4, off offset:264 ; 4-byte Folded Spill
	ds_store_b128 v255, v[72:75] offset:1920
	ds_store_b128 v255, v[76:79] offset:2160
	;; [unrolled: 1-line block ×5, first 2 shown]
	s_and_saveexec_b32 s3, vcc_lo
	s_cbranch_execz .LBB0_3
; %bb.2:
	v_or_b32_e32 v7, 58, v230
	v_or_b32_e32 v10, 28, v230
	v_mad_co_u64_u32 v[0:1], null, 0xfffff590, s8, v[0:1]
	s_mul_i32 s2, s9, 0xfffff590
	s_delay_alu instid0(VALU_DEP_3) | instskip(NEXT) | instid1(VALU_DEP_3)
	v_mad_co_u64_u32 v[8:9], null, s8, v7, 0
	v_mad_co_u64_u32 v[4:5], null, s8, v10, 0
	s_wait_alu 0xfffe
	s_sub_co_i32 s2, s2, s8
	v_or_b32_e32 v13, 0x58, v230
	v_or_b32_e32 v26, 0x76, v230
	s_mul_u64 s[14:15], s[8:9], 0x1e0
	s_wait_alu 0xfffe
	v_dual_mov_b32 v6, v9 :: v_dual_add_nc_u32 v1, s2, v1
	v_mad_co_u64_u32 v[20:21], null, s8, v13, 0
	v_mad_co_u64_u32 v[22:23], null, s8, v26, 0
	s_delay_alu instid0(VALU_DEP_3) | instskip(SKIP_3) | instid1(VALU_DEP_4)
	v_mad_co_u64_u32 v[9:10], null, s9, v10, v[5:6]
	v_mad_co_u64_u32 v[6:7], null, s9, v7, v[6:7]
	v_or_b32_e32 v28, 0x94, v230
	v_or_b32_e32 v30, 0xb2, v230
	v_dual_mov_b32 v10, v21 :: v_dual_mov_b32 v5, v9
	s_delay_alu instid0(VALU_DEP_4) | instskip(NEXT) | instid1(VALU_DEP_2)
	v_mov_b32_e32 v9, v6
	v_lshlrev_b64_e32 v[11:12], 4, v[4:5]
	global_load_b128 v[4:7], v[0:1], off
	v_mad_co_u64_u32 v[13:14], null, s9, v13, v[10:11]
	v_lshlrev_b64_e32 v[14:15], 4, v[8:9]
	v_add_co_u32 v8, s2, v2, v11
	s_wait_alu 0xf1ff
	v_add_co_ci_u32_e64 v9, s2, v3, v12, s2
	v_add_co_u32 v0, s2, v0, s14
	v_mov_b32_e32 v21, v13
	s_wait_alu 0xf1ff
	v_add_co_ci_u32_e64 v1, s2, s15, v1, s2
	v_add_co_u32 v24, s2, v2, v14
	s_wait_alu 0xf1ff
	v_add_co_ci_u32_e64 v25, s2, v3, v15, s2
	v_lshlrev_b64_e32 v[20:21], 4, v[20:21]
	global_load_b128 v[8:11], v[8:9], off
	s_clause 0x1
	global_load_b128 v[12:15], v[228:229], off offset:208
	global_load_b128 v[16:19], v[228:229], off offset:448
	global_load_b128 v[52:55], v[0:1], off
	global_load_b128 v[56:59], v[24:25], off
	v_mad_co_u64_u32 v[23:24], null, s9, v26, v[23:24]
	v_add_co_u32 v0, s2, v0, s14
	v_mad_co_u64_u32 v[24:25], null, s8, v28, 0
	s_wait_alu 0xf1ff
	v_add_co_ci_u32_e64 v1, s2, s15, v1, s2
	v_add_co_u32 v20, s2, v2, v20
	s_wait_alu 0xf1ff
	v_add_co_ci_u32_e64 v21, s2, v3, v21, s2
	s_clause 0x1
	global_load_b128 v[60:63], v[228:229], off offset:688
	global_load_b128 v[64:67], v[228:229], off offset:928
	global_load_b128 v[68:71], v[0:1], off
	global_load_b128 v[72:75], v[20:21], off
	s_clause 0x1
	global_load_b128 v[76:79], v[228:229], off offset:1168
	global_load_b128 v[80:83], v[228:229], off offset:1408
	v_lshlrev_b64_e32 v[21:22], 4, v[22:23]
	v_mov_b32_e32 v20, v25
	v_mad_co_u64_u32 v[26:27], null, s8, v30, 0
	v_add_co_u32 v0, s2, v0, s14
	s_delay_alu instid0(VALU_DEP_3) | instskip(SKIP_2) | instid1(VALU_DEP_4)
	v_mad_co_u64_u32 v[28:29], null, s9, v28, v[20:21]
	s_wait_alu 0xf1ff
	v_add_co_ci_u32_e64 v1, s2, s15, v1, s2
	v_mov_b32_e32 v20, v27
	v_add_co_u32 v21, s2, v2, v21
	s_wait_alu 0xf1ff
	v_add_co_ci_u32_e64 v22, s2, v3, v22, s2
	v_mov_b32_e32 v25, v28
	s_delay_alu instid0(VALU_DEP_3)
	v_mad_co_u64_u32 v[27:28], null, s9, v30, v[20:21]
	global_load_b128 v[84:87], v[0:1], off
	global_load_b128 v[88:91], v[21:22], off
	v_add_co_u32 v0, s2, v0, s14
	v_lshlrev_b64_e32 v[20:21], 4, v[24:25]
	s_wait_alu 0xf1ff
	v_add_co_ci_u32_e64 v1, s2, s15, v1, s2
	v_lshlrev_b64_e32 v[22:23], 4, v[26:27]
	s_clause 0x1
	global_load_b128 v[92:95], v[228:229], off offset:1648
	global_load_b128 v[96:99], v[228:229], off offset:1888
	v_add_co_u32 v20, s2, v2, v20
	s_wait_alu 0xf1ff
	v_add_co_ci_u32_e64 v21, s2, v3, v21, s2
	v_add_co_u32 v2, s2, v2, v22
	s_wait_alu 0xf1ff
	v_add_co_ci_u32_e64 v3, s2, v3, v23, s2
	global_load_b128 v[100:103], v[0:1], off
	global_load_b128 v[104:107], v[20:21], off
	s_clause 0x1
	global_load_b128 v[108:111], v[228:229], off offset:2128
	global_load_b128 v[112:115], v[228:229], off offset:2368
	v_add_co_u32 v20, s2, v0, s14
	s_wait_alu 0xf1ff
	v_add_co_ci_u32_e64 v21, s2, s15, v1, s2
	global_load_b128 v[0:3], v[2:3], off
	v_add_co_u32 v22, s2, v20, s14
	s_wait_alu 0xf1ff
	v_add_co_ci_u32_e64 v23, s2, s15, v21, s2
	s_clause 0x1
	global_load_b128 v[116:119], v[228:229], off offset:2848
	global_load_b128 v[120:123], v[228:229], off offset:2608
	global_load_b128 v[124:127], v[20:21], off
	global_load_b128 v[128:131], v[228:229], off offset:3088
	global_load_b128 v[132:135], v[22:23], off
	s_wait_loadcnt 0x17
	v_mul_f64_e32 v[20:21], v[6:7], v[14:15]
	v_mul_f64_e32 v[14:15], v[4:5], v[14:15]
	s_wait_loadcnt 0x16
	v_mul_f64_e32 v[38:39], v[10:11], v[18:19]
	v_mul_f64_e32 v[18:19], v[8:9], v[18:19]
	;; [unrolled: 3-line block ×4, first 2 shown]
	v_mul_f64_e32 v[78:79], v[58:59], v[66:67]
	v_fma_f64 v[4:5], v[4:5], v[12:13], v[20:21]
	v_fma_f64 v[6:7], v[6:7], v[12:13], -v[14:15]
	v_fma_f64 v[8:9], v[8:9], v[16:17], v[38:39]
	s_wait_loadcnt 0xb
	v_mul_f64_e32 v[30:31], v[86:87], v[94:95]
	v_mul_f64_e32 v[32:33], v[84:85], v[94:95]
	;; [unrolled: 1-line block ×3, first 2 shown]
	s_wait_loadcnt 0xa
	v_mul_f64_e32 v[136:137], v[90:91], v[98:99]
	v_mul_f64_e32 v[98:99], v[88:89], v[98:99]
	v_fma_f64 v[10:11], v[10:11], v[16:17], -v[18:19]
	v_fma_f64 v[12:13], v[52:53], v[60:61], v[22:23]
	v_fma_f64 v[14:15], v[54:55], v[60:61], -v[24:25]
	s_wait_loadcnt 0x7
	v_mul_f64_e32 v[34:35], v[102:103], v[110:111]
	v_mul_f64_e32 v[36:37], v[100:101], v[110:111]
	;; [unrolled: 1-line block ×4, first 2 shown]
	s_wait_loadcnt 0x6
	v_mul_f64_e32 v[138:139], v[106:107], v[114:115]
	v_mul_f64_e32 v[114:115], v[104:105], v[114:115]
	v_fma_f64 v[16:17], v[56:57], v[64:65], v[78:79]
	s_wait_loadcnt 0x4
	v_mul_f64_e32 v[140:141], v[2:3], v[118:119]
	v_mul_f64_e32 v[118:119], v[0:1], v[118:119]
	s_wait_loadcnt 0x2
	v_mul_f64_e32 v[142:143], v[126:127], v[122:123]
	v_mul_f64_e32 v[122:123], v[124:125], v[122:123]
	;; [unrolled: 3-line block ×3, first 2 shown]
	v_fma_f64 v[52:53], v[68:69], v[76:77], v[26:27]
	v_fma_f64 v[54:55], v[70:71], v[76:77], -v[28:29]
	v_fma_f64 v[60:61], v[84:85], v[92:93], v[30:31]
	v_fma_f64 v[62:63], v[86:87], v[92:93], -v[32:33]
	v_fma_f64 v[18:19], v[58:59], v[64:65], -v[94:95]
	v_fma_f64 v[70:71], v[88:89], v[96:97], v[136:137]
	v_fma_f64 v[66:67], v[100:101], v[108:109], v[34:35]
	v_fma_f64 v[68:69], v[102:103], v[108:109], -v[36:37]
	v_fma_f64 v[56:57], v[72:73], v[80:81], v[110:111]
	v_fma_f64 v[58:59], v[74:75], v[80:81], -v[82:83]
	v_fma_f64 v[72:73], v[90:91], v[96:97], -v[98:99]
	v_fma_f64 v[74:75], v[104:105], v[112:113], v[138:139]
	v_fma_f64 v[76:77], v[106:107], v[112:113], -v[114:115]
	v_fma_f64 v[0:1], v[0:1], v[116:117], v[140:141]
	;; [unrolled: 2-line block ×4, first 2 shown]
	v_fma_f64 v[84:85], v[134:135], v[128:129], -v[130:131]
	ds_store_b128 v255, v[4:7] offset:208
	ds_store_b128 v255, v[8:11] offset:448
	;; [unrolled: 1-line block ×13, first 2 shown]
.LBB0_3:
	s_wait_alu 0xfffe
	s_or_b32 exec_lo, exec_lo, s3
	global_wb scope:SCOPE_SE
	s_wait_storecnt_dscnt 0x0
	s_wait_kmcnt 0x0
	s_barrier_signal -1
	s_barrier_wait -1
	global_inv scope:SCOPE_SE
	ds_load_b128 v[52:55], v255
	ds_load_b128 v[72:75], v255 offset:240
	ds_load_b128 v[84:87], v255 offset:480
	ds_load_b128 v[92:95], v255 offset:720
	ds_load_b128 v[100:103], v255 offset:960
	ds_load_b128 v[108:111], v255 offset:1200
	ds_load_b128 v[152:155], v255 offset:1440
	ds_load_b128 v[148:151], v255 offset:1680
	ds_load_b128 v[104:107], v255 offset:1920
	ds_load_b128 v[96:99], v255 offset:2160
	ds_load_b128 v[88:91], v255 offset:2400
	ds_load_b128 v[76:79], v255 offset:2640
	ds_load_b128 v[56:59], v255 offset:2880
	s_load_b64 s[2:3], s[0:1], 0x8
                                        ; implicit-def: $vgpr60_vgpr61
                                        ; implicit-def: $vgpr64_vgpr65
                                        ; implicit-def: $vgpr68_vgpr69
                                        ; implicit-def: $vgpr80_vgpr81
                                        ; implicit-def: $vgpr112_vgpr113
                                        ; implicit-def: $vgpr116_vgpr117
                                        ; implicit-def: $vgpr120_vgpr121
                                        ; implicit-def: $vgpr124_vgpr125
                                        ; implicit-def: $vgpr128_vgpr129
                                        ; implicit-def: $vgpr132_vgpr133
                                        ; implicit-def: $vgpr136_vgpr137
                                        ; implicit-def: $vgpr140_vgpr141
                                        ; implicit-def: $vgpr144_vgpr145
	s_and_saveexec_b32 s0, vcc_lo
	s_cbranch_execz .LBB0_5
; %bb.4:
	ds_load_b128 v[60:63], v255 offset:208
	ds_load_b128 v[64:67], v255 offset:448
	;; [unrolled: 1-line block ×13, first 2 shown]
.LBB0_5:
	s_wait_alu 0xfffe
	s_or_b32 exec_lo, exec_lo, s0
	s_wait_dscnt 0xb
	v_add_f64_e32 v[0:1], v[52:53], v[72:73]
	v_add_f64_e32 v[2:3], v[54:55], v[74:75]
	s_wait_dscnt 0x0
	v_add_f64_e64 v[4:5], v[74:75], -v[58:59]
	s_mov_b32 s38, 0x4267c47c
	s_mov_b32 s28, 0x42a4c3d2
	;; [unrolled: 1-line block ×12, first 2 shown]
	v_add_f64_e32 v[192:193], v[152:153], v[148:149]
	v_add_f64_e32 v[194:195], v[154:155], v[150:151]
	v_add_f64_e64 v[200:201], v[152:153], -v[148:149]
	v_add_f64_e64 v[202:203], v[154:155], -v[150:151]
	v_add_f64_e32 v[6:7], v[72:73], v[56:57]
	v_add_f64_e64 v[10:11], v[72:73], -v[56:57]
	s_mov_b32 s20, 0xe00740e9
	s_mov_b32 s18, 0x1ea71119
	;; [unrolled: 1-line block ×12, first 2 shown]
	v_add_f64_e32 v[198:199], v[110:111], v[106:107]
	v_add_f64_e32 v[8:9], v[74:75], v[58:59]
	;; [unrolled: 1-line block ×3, first 2 shown]
	s_mov_b32 s43, 0x3fe5384d
	s_mov_b32 s42, s24
	v_add_f64_e32 v[0:1], v[0:1], v[84:85]
	v_add_f64_e32 v[2:3], v[2:3], v[86:87]
	v_mul_f64_e32 v[12:13], s[30:31], v[4:5]
	v_mul_f64_e32 v[14:15], s[22:23], v[4:5]
	;; [unrolled: 1-line block ×3, first 2 shown]
	s_mov_b32 s35, 0x3fefc445
	s_mov_b32 s34, s30
	;; [unrolled: 1-line block ×10, first 2 shown]
	v_add_f64_e32 v[206:207], v[70:71], v[142:143]
	v_add_f64_e32 v[204:205], v[80:81], v[136:137]
	;; [unrolled: 1-line block ×3, first 2 shown]
	v_mul_f64_e32 v[164:165], s[26:27], v[202:203]
	v_add_f64_e32 v[208:209], v[112:113], v[132:133]
	v_mul_f64_e32 v[30:31], s[28:29], v[10:11]
	v_mul_f64_e32 v[32:33], s[30:31], v[10:11]
	;; [unrolled: 1-line block ×4, first 2 shown]
	v_add_f64_e32 v[216:217], v[114:115], v[134:135]
	v_add_f64_e32 v[214:215], v[116:117], v[128:129]
	;; [unrolled: 1-line block ×7, first 2 shown]
	v_fma_f64 v[22:23], v[6:7], s[16:17], -v[12:13]
	v_fma_f64 v[12:13], v[6:7], s[16:17], v[12:13]
	s_wait_alu 0xfffe
	v_fma_f64 v[24:25], v[6:7], s[14:15], -v[14:15]
	v_fma_f64 v[14:15], v[6:7], s[14:15], v[14:15]
	v_fma_f64 v[26:27], v[6:7], s[8:9], -v[16:17]
	v_fma_f64 v[16:17], v[6:7], s[8:9], v[16:17]
	v_fma_f64 v[72:73], v[8:9], s[14:15], v[34:35]
	v_fma_f64 v[34:35], v[8:9], s[14:15], -v[34:35]
	v_fma_f64 v[74:75], v[8:9], s[8:9], v[36:37]
	v_fma_f64 v[36:37], v[8:9], s[8:9], -v[36:37]
	v_add_f64_e32 v[0:1], v[0:1], v[100:101]
	v_add_f64_e32 v[2:3], v[2:3], v[102:103]
	;; [unrolled: 1-line block ×12, first 2 shown]
	v_add_f64_e64 v[110:111], v[110:111], -v[106:107]
	v_add_f64_e64 v[108:109], v[108:109], -v[104:105]
	s_delay_alu instid0(VALU_DEP_4) | instskip(NEXT) | instid1(VALU_DEP_4)
	v_add_f64_e32 v[0:1], v[0:1], v[152:153]
	v_add_f64_e32 v[2:3], v[2:3], v[154:155]
	s_delay_alu instid0(VALU_DEP_4) | instskip(NEXT) | instid1(VALU_DEP_4)
	v_mul_f64_e32 v[160:161], s[24:25], v[110:111]
	v_mul_f64_e32 v[162:163], s[24:25], v[108:109]
	s_delay_alu instid0(VALU_DEP_4) | instskip(NEXT) | instid1(VALU_DEP_4)
	v_add_f64_e32 v[0:1], v[0:1], v[148:149]
	v_add_f64_e32 v[2:3], v[2:3], v[150:151]
	s_delay_alu instid0(VALU_DEP_2) | instskip(NEXT) | instid1(VALU_DEP_2)
	v_add_f64_e32 v[0:1], v[0:1], v[104:105]
	v_add_f64_e32 v[2:3], v[2:3], v[106:107]
	v_add_f64_e32 v[106:107], v[102:103], v[98:99]
	v_add_f64_e64 v[102:103], v[102:103], -v[98:99]
	v_add_f64_e32 v[104:105], v[100:101], v[96:97]
	v_add_f64_e64 v[100:101], v[100:101], -v[96:97]
	v_add_f64_e32 v[0:1], v[0:1], v[96:97]
	v_add_f64_e32 v[2:3], v[2:3], v[98:99]
	v_add_f64_e32 v[98:99], v[94:95], v[90:91]
	v_add_f64_e64 v[94:95], v[94:95], -v[90:91]
	v_add_f64_e32 v[96:97], v[92:93], v[88:89]
	v_add_f64_e64 v[92:93], v[92:93], -v[88:89]
	v_mul_f64_e32 v[156:157], s[22:23], v[102:103]
	v_mul_f64_e32 v[158:159], s[22:23], v[100:101]
	v_add_f64_e32 v[0:1], v[0:1], v[88:89]
	v_add_f64_e32 v[2:3], v[2:3], v[90:91]
	;; [unrolled: 1-line block ×3, first 2 shown]
	v_add_f64_e64 v[86:87], v[86:87], -v[78:79]
	v_add_f64_e32 v[88:89], v[84:85], v[76:77]
	v_add_f64_e64 v[84:85], v[84:85], -v[76:77]
	v_add_f64_e32 v[0:1], v[0:1], v[76:77]
	v_add_f64_e32 v[2:3], v[2:3], v[78:79]
	s_delay_alu instid0(VALU_DEP_2) | instskip(NEXT) | instid1(VALU_DEP_2)
	v_add_f64_e32 v[148:149], v[0:1], v[56:57]
	v_add_f64_e32 v[150:151], v[2:3], v[58:59]
	v_mul_f64_e32 v[0:1], s[38:39], v[4:5]
	v_mul_f64_e32 v[2:3], s[28:29], v[4:5]
	;; [unrolled: 1-line block ×3, first 2 shown]
	v_fma_f64 v[56:57], v[8:9], s[18:19], v[30:31]
	v_fma_f64 v[30:31], v[8:9], s[18:19], -v[30:31]
	v_fma_f64 v[58:59], v[8:9], s[16:17], v[32:33]
	v_fma_f64 v[32:33], v[8:9], s[16:17], -v[32:33]
	v_fma_f64 v[18:19], v[6:7], s[20:21], -v[0:1]
	v_fma_f64 v[0:1], v[6:7], s[20:21], v[0:1]
	v_fma_f64 v[20:21], v[6:7], s[18:19], -v[2:3]
	v_fma_f64 v[2:3], v[6:7], s[18:19], v[2:3]
	;; [unrolled: 2-line block ×3, first 2 shown]
	v_mul_f64_e32 v[6:7], s[38:39], v[10:11]
	v_mul_f64_e32 v[10:11], s[26:27], v[10:11]
	v_add_f64_e32 v[30:31], v[54:55], v[30:31]
	v_add_f64_e32 v[32:33], v[54:55], v[32:33]
	;; [unrolled: 1-line block ×6, first 2 shown]
	v_fma_f64 v[38:39], v[8:9], s[20:21], v[6:7]
	v_fma_f64 v[6:7], v[8:9], s[20:21], -v[6:7]
	v_fma_f64 v[76:77], v[8:9], s[0:1], v[10:11]
	v_fma_f64 v[8:9], v[8:9], s[0:1], -v[10:11]
	v_add_f64_e32 v[10:11], v[52:53], v[18:19]
	v_add_f64_e32 v[52:53], v[52:53], v[4:5]
	v_mul_f64_e32 v[4:5], s[28:29], v[86:87]
	v_add_f64_e32 v[18:19], v[54:55], v[38:39]
	v_add_f64_e32 v[6:7], v[54:55], v[6:7]
	;; [unrolled: 1-line block ×8, first 2 shown]
	v_fma_f64 v[8:9], v[88:89], s[18:19], -v[4:5]
	v_fma_f64 v[4:5], v[88:89], s[18:19], v[4:5]
	s_delay_alu instid0(VALU_DEP_2) | instskip(SKIP_1) | instid1(VALU_DEP_3)
	v_add_f64_e32 v[8:9], v[8:9], v[10:11]
	v_mul_f64_e32 v[10:11], s[28:29], v[84:85]
	v_add_f64_e32 v[0:1], v[4:5], v[0:1]
	s_delay_alu instid0(VALU_DEP_2) | instskip(SKIP_2) | instid1(VALU_DEP_3)
	v_fma_f64 v[76:77], v[90:91], s[18:19], v[10:11]
	v_fma_f64 v[4:5], v[90:91], s[18:19], -v[10:11]
	v_mul_f64_e32 v[10:11], s[26:27], v[94:95]
	v_add_f64_e32 v[18:19], v[76:77], v[18:19]
	v_mul_f64_e32 v[76:77], s[30:31], v[94:95]
	s_delay_alu instid0(VALU_DEP_4) | instskip(NEXT) | instid1(VALU_DEP_2)
	v_add_f64_e32 v[4:5], v[4:5], v[6:7]
	v_fma_f64 v[78:79], v[96:97], s[16:17], -v[76:77]
	v_fma_f64 v[6:7], v[96:97], s[16:17], v[76:77]
	s_delay_alu instid0(VALU_DEP_2) | instskip(SKIP_1) | instid1(VALU_DEP_3)
	v_add_f64_e32 v[8:9], v[78:79], v[8:9]
	v_mul_f64_e32 v[78:79], s[30:31], v[92:93]
	v_add_f64_e32 v[0:1], v[6:7], v[0:1]
	s_delay_alu instid0(VALU_DEP_2) | instskip(SKIP_1) | instid1(VALU_DEP_2)
	v_fma_f64 v[152:153], v[98:99], s[16:17], v[78:79]
	v_fma_f64 v[6:7], v[98:99], s[16:17], -v[78:79]
	v_add_f64_e32 v[18:19], v[152:153], v[18:19]
	v_fma_f64 v[152:153], v[104:105], s[14:15], -v[156:157]
	s_delay_alu instid0(VALU_DEP_3) | instskip(SKIP_1) | instid1(VALU_DEP_3)
	v_add_f64_e32 v[4:5], v[6:7], v[4:5]
	v_fma_f64 v[6:7], v[104:105], s[14:15], v[156:157]
	v_add_f64_e32 v[8:9], v[152:153], v[8:9]
	v_fma_f64 v[152:153], v[106:107], s[14:15], v[158:159]
	s_delay_alu instid0(VALU_DEP_3) | instskip(SKIP_1) | instid1(VALU_DEP_3)
	v_add_f64_e32 v[0:1], v[6:7], v[0:1]
	v_fma_f64 v[6:7], v[106:107], s[14:15], -v[158:159]
	v_add_f64_e32 v[18:19], v[152:153], v[18:19]
	v_fma_f64 v[152:153], v[196:197], s[8:9], -v[160:161]
	s_delay_alu instid0(VALU_DEP_3) | instskip(SKIP_1) | instid1(VALU_DEP_3)
	v_add_f64_e32 v[4:5], v[6:7], v[4:5]
	v_fma_f64 v[6:7], v[196:197], s[8:9], v[160:161]
	v_add_f64_e32 v[8:9], v[152:153], v[8:9]
	v_fma_f64 v[152:153], v[198:199], s[8:9], v[162:163]
	s_delay_alu instid0(VALU_DEP_3) | instskip(SKIP_1) | instid1(VALU_DEP_3)
	v_add_f64_e32 v[0:1], v[6:7], v[0:1]
	v_fma_f64 v[6:7], v[198:199], s[8:9], -v[162:163]
	v_add_f64_e32 v[18:19], v[152:153], v[18:19]
	v_fma_f64 v[152:153], v[192:193], s[0:1], -v[164:165]
	s_delay_alu instid0(VALU_DEP_3) | instskip(SKIP_1) | instid1(VALU_DEP_3)
	v_add_f64_e32 v[4:5], v[6:7], v[4:5]
	v_fma_f64 v[6:7], v[192:193], s[0:1], v[164:165]
	v_add_f64_e32 v[152:153], v[152:153], v[8:9]
	v_mul_f64_e32 v[8:9], s[26:27], v[200:201]
	s_delay_alu instid0(VALU_DEP_3) | instskip(SKIP_2) | instid1(VALU_DEP_4)
	v_add_f64_e32 v[156:157], v[6:7], v[0:1]
	v_mul_f64_e32 v[0:1], s[22:23], v[86:87]
	v_mul_f64_e32 v[6:7], s[22:23], v[84:85]
	v_fma_f64 v[154:155], v[194:195], s[0:1], v[8:9]
	v_fma_f64 v[8:9], v[194:195], s[0:1], -v[8:9]
	s_delay_alu instid0(VALU_DEP_2) | instskip(NEXT) | instid1(VALU_DEP_2)
	v_add_f64_e32 v[154:155], v[154:155], v[18:19]
	v_add_f64_e32 v[158:159], v[8:9], v[4:5]
	v_fma_f64 v[4:5], v[88:89], s[14:15], -v[0:1]
	v_fma_f64 v[18:19], v[96:97], s[0:1], -v[10:11]
	v_fma_f64 v[8:9], v[90:91], s[14:15], v[6:7]
	v_fma_f64 v[0:1], v[88:89], s[14:15], v[0:1]
	s_delay_alu instid0(VALU_DEP_4) | instskip(NEXT) | instid1(VALU_DEP_3)
	v_add_f64_e32 v[4:5], v[4:5], v[20:21]
	v_add_f64_e32 v[8:9], v[8:9], v[38:39]
	s_delay_alu instid0(VALU_DEP_3) | instskip(SKIP_4) | instid1(VALU_DEP_4)
	v_add_f64_e32 v[0:1], v[0:1], v[2:3]
	v_fma_f64 v[2:3], v[90:91], s[14:15], -v[6:7]
	v_fma_f64 v[6:7], v[96:97], s[0:1], v[10:11]
	v_add_f64_e32 v[4:5], v[18:19], v[4:5]
	v_mul_f64_e32 v[18:19], s[26:27], v[92:93]
	v_add_f64_e32 v[2:3], v[2:3], v[30:31]
	s_delay_alu instid0(VALU_DEP_4) | instskip(NEXT) | instid1(VALU_DEP_3)
	v_add_f64_e32 v[0:1], v[6:7], v[0:1]
	v_fma_f64 v[20:21], v[98:99], s[0:1], v[18:19]
	v_fma_f64 v[6:7], v[98:99], s[0:1], -v[18:19]
	s_delay_alu instid0(VALU_DEP_2) | instskip(SKIP_1) | instid1(VALU_DEP_3)
	v_add_f64_e32 v[8:9], v[20:21], v[8:9]
	v_mul_f64_e32 v[20:21], s[42:43], v[102:103]
	v_add_f64_e32 v[2:3], v[6:7], v[2:3]
	s_delay_alu instid0(VALU_DEP_2) | instskip(SKIP_1) | instid1(VALU_DEP_2)
	v_fma_f64 v[38:39], v[104:105], s[8:9], -v[20:21]
	v_fma_f64 v[6:7], v[104:105], s[8:9], v[20:21]
	v_add_f64_e32 v[4:5], v[38:39], v[4:5]
	v_mul_f64_e32 v[38:39], s[42:43], v[100:101]
	s_delay_alu instid0(VALU_DEP_3) | instskip(NEXT) | instid1(VALU_DEP_2)
	v_add_f64_e32 v[0:1], v[6:7], v[0:1]
	v_fma_f64 v[76:77], v[106:107], s[8:9], v[38:39]
	v_fma_f64 v[6:7], v[106:107], s[8:9], -v[38:39]
	s_delay_alu instid0(VALU_DEP_2) | instskip(SKIP_1) | instid1(VALU_DEP_3)
	v_add_f64_e32 v[8:9], v[76:77], v[8:9]
	v_mul_f64_e32 v[76:77], s[34:35], v[110:111]
	v_add_f64_e32 v[2:3], v[6:7], v[2:3]
	s_delay_alu instid0(VALU_DEP_2) | instskip(SKIP_2) | instid1(VALU_DEP_3)
	v_fma_f64 v[78:79], v[196:197], s[16:17], -v[76:77]
	v_fma_f64 v[6:7], v[196:197], s[16:17], v[76:77]
	v_mul_f64_e32 v[76:77], s[34:35], v[200:201]
	v_add_f64_e32 v[4:5], v[78:79], v[4:5]
	v_mul_f64_e32 v[78:79], s[34:35], v[108:109]
	s_delay_alu instid0(VALU_DEP_4) | instskip(NEXT) | instid1(VALU_DEP_2)
	v_add_f64_e32 v[0:1], v[6:7], v[0:1]
	v_fma_f64 v[160:161], v[198:199], s[16:17], v[78:79]
	v_fma_f64 v[6:7], v[198:199], s[16:17], -v[78:79]
	v_mul_f64_e32 v[78:79], s[22:23], v[108:109]
	s_delay_alu instid0(VALU_DEP_3) | instskip(SKIP_1) | instid1(VALU_DEP_4)
	v_add_f64_e32 v[8:9], v[160:161], v[8:9]
	v_mul_f64_e32 v[160:161], s[36:37], v[202:203]
	v_add_f64_e32 v[2:3], v[6:7], v[2:3]
	s_delay_alu instid0(VALU_DEP_2) | instskip(SKIP_1) | instid1(VALU_DEP_2)
	v_fma_f64 v[162:163], v[192:193], s[20:21], -v[160:161]
	v_fma_f64 v[6:7], v[192:193], s[20:21], v[160:161]
	v_add_f64_e32 v[164:165], v[162:163], v[4:5]
	v_mul_f64_e32 v[4:5], s[36:37], v[200:201]
	s_delay_alu instid0(VALU_DEP_3) | instskip(SKIP_1) | instid1(VALU_DEP_3)
	v_add_f64_e32 v[160:161], v[6:7], v[0:1]
	v_mul_f64_e32 v[0:1], s[26:27], v[86:87]
	v_fma_f64 v[162:163], v[194:195], s[20:21], v[4:5]
	v_fma_f64 v[4:5], v[194:195], s[20:21], -v[4:5]
	s_delay_alu instid0(VALU_DEP_2) | instskip(NEXT) | instid1(VALU_DEP_2)
	v_add_f64_e32 v[166:167], v[162:163], v[8:9]
	v_add_f64_e32 v[162:163], v[4:5], v[2:3]
	v_fma_f64 v[2:3], v[88:89], s[0:1], -v[0:1]
	v_mul_f64_e32 v[8:9], s[46:47], v[94:95]
	v_mul_f64_e32 v[4:5], s[26:27], v[84:85]
	v_fma_f64 v[0:1], v[88:89], s[0:1], v[0:1]
	s_delay_alu instid0(VALU_DEP_4) | instskip(NEXT) | instid1(VALU_DEP_4)
	v_add_f64_e32 v[2:3], v[2:3], v[22:23]
	v_fma_f64 v[10:11], v[96:97], s[14:15], -v[8:9]
	s_delay_alu instid0(VALU_DEP_4) | instskip(NEXT) | instid1(VALU_DEP_4)
	v_fma_f64 v[6:7], v[90:91], s[0:1], v[4:5]
	v_add_f64_e32 v[0:1], v[0:1], v[12:13]
	v_fma_f64 v[4:5], v[90:91], s[0:1], -v[4:5]
	s_delay_alu instid0(VALU_DEP_4) | instskip(SKIP_2) | instid1(VALU_DEP_4)
	v_add_f64_e32 v[2:3], v[10:11], v[2:3]
	v_mul_f64_e32 v[10:11], s[46:47], v[92:93]
	v_add_f64_e32 v[6:7], v[6:7], v[56:57]
	v_add_f64_e32 v[4:5], v[4:5], v[32:33]
	s_delay_alu instid0(VALU_DEP_3) | instskip(NEXT) | instid1(VALU_DEP_1)
	v_fma_f64 v[18:19], v[98:99], s[14:15], v[10:11]
	v_add_f64_e32 v[6:7], v[18:19], v[6:7]
	v_mul_f64_e32 v[18:19], s[36:37], v[102:103]
	s_delay_alu instid0(VALU_DEP_1) | instskip(NEXT) | instid1(VALU_DEP_1)
	v_fma_f64 v[20:21], v[104:105], s[20:21], -v[18:19]
	v_add_f64_e32 v[2:3], v[20:21], v[2:3]
	v_mul_f64_e32 v[20:21], s[36:37], v[100:101]
	s_delay_alu instid0(VALU_DEP_1) | instskip(NEXT) | instid1(VALU_DEP_1)
	v_fma_f64 v[22:23], v[106:107], s[20:21], v[20:21]
	v_add_f64_e32 v[6:7], v[22:23], v[6:7]
	v_mul_f64_e32 v[22:23], s[28:29], v[110:111]
	s_delay_alu instid0(VALU_DEP_1) | instskip(NEXT) | instid1(VALU_DEP_1)
	v_fma_f64 v[30:31], v[196:197], s[18:19], -v[22:23]
	v_add_f64_e32 v[2:3], v[30:31], v[2:3]
	v_mul_f64_e32 v[30:31], s[28:29], v[108:109]
	s_delay_alu instid0(VALU_DEP_1) | instskip(NEXT) | instid1(VALU_DEP_1)
	v_fma_f64 v[38:39], v[198:199], s[18:19], v[30:31]
	v_add_f64_e32 v[6:7], v[38:39], v[6:7]
	v_mul_f64_e32 v[38:39], s[24:25], v[202:203]
	s_delay_alu instid0(VALU_DEP_1) | instskip(NEXT) | instid1(VALU_DEP_1)
	v_fma_f64 v[56:57], v[192:193], s[8:9], -v[38:39]
	v_add_f64_e32 v[172:173], v[56:57], v[2:3]
	v_mul_f64_e32 v[2:3], s[24:25], v[200:201]
	s_delay_alu instid0(VALU_DEP_1) | instskip(SKIP_1) | instid1(VALU_DEP_2)
	v_fma_f64 v[56:57], v[194:195], s[8:9], v[2:3]
	v_fma_f64 v[2:3], v[194:195], s[8:9], -v[2:3]
	v_add_f64_e32 v[174:175], v[56:57], v[6:7]
	v_fma_f64 v[6:7], v[96:97], s[14:15], v[8:9]
	v_mul_f64_e32 v[8:9], s[36:37], v[94:95]
	v_mul_f64_e32 v[56:57], s[24:25], v[94:95]
	s_delay_alu instid0(VALU_DEP_3) | instskip(SKIP_1) | instid1(VALU_DEP_4)
	v_add_f64_e32 v[0:1], v[6:7], v[0:1]
	v_fma_f64 v[6:7], v[98:99], s[14:15], -v[10:11]
	v_fma_f64 v[10:11], v[96:97], s[20:21], -v[8:9]
	s_delay_alu instid0(VALU_DEP_2) | instskip(SKIP_1) | instid1(VALU_DEP_1)
	v_add_f64_e32 v[4:5], v[6:7], v[4:5]
	v_fma_f64 v[6:7], v[104:105], s[20:21], v[18:19]
	v_add_f64_e32 v[0:1], v[6:7], v[0:1]
	v_fma_f64 v[6:7], v[106:107], s[20:21], -v[20:21]
	s_delay_alu instid0(VALU_DEP_1) | instskip(SKIP_1) | instid1(VALU_DEP_1)
	v_add_f64_e32 v[4:5], v[6:7], v[4:5]
	v_fma_f64 v[6:7], v[196:197], s[18:19], v[22:23]
	v_add_f64_e32 v[0:1], v[6:7], v[0:1]
	v_fma_f64 v[6:7], v[198:199], s[18:19], -v[30:31]
	s_delay_alu instid0(VALU_DEP_1) | instskip(SKIP_1) | instid1(VALU_DEP_2)
	v_add_f64_e32 v[4:5], v[6:7], v[4:5]
	v_fma_f64 v[6:7], v[192:193], s[8:9], v[38:39]
	v_add_f64_e32 v[170:171], v[2:3], v[4:5]
	s_delay_alu instid0(VALU_DEP_2) | instskip(SKIP_2) | instid1(VALU_DEP_2)
	v_add_f64_e32 v[168:169], v[6:7], v[0:1]
	v_mul_f64_e32 v[0:1], s[42:43], v[86:87]
	v_mul_f64_e32 v[4:5], s[42:43], v[84:85]
	v_fma_f64 v[2:3], v[88:89], s[8:9], -v[0:1]
	s_delay_alu instid0(VALU_DEP_2) | instskip(SKIP_2) | instid1(VALU_DEP_4)
	v_fma_f64 v[6:7], v[90:91], s[8:9], v[4:5]
	v_fma_f64 v[0:1], v[88:89], s[8:9], v[0:1]
	v_fma_f64 v[4:5], v[90:91], s[8:9], -v[4:5]
	v_add_f64_e32 v[2:3], v[2:3], v[24:25]
	s_delay_alu instid0(VALU_DEP_4) | instskip(NEXT) | instid1(VALU_DEP_4)
	v_add_f64_e32 v[6:7], v[6:7], v[58:59]
	v_add_f64_e32 v[0:1], v[0:1], v[14:15]
	s_delay_alu instid0(VALU_DEP_4) | instskip(SKIP_3) | instid1(VALU_DEP_1)
	v_add_f64_e32 v[4:5], v[4:5], v[34:35]
	v_mul_f64_e32 v[58:59], s[40:41], v[100:101]
	v_add_f64_e32 v[2:3], v[10:11], v[2:3]
	v_mul_f64_e32 v[10:11], s[36:37], v[92:93]
	v_fma_f64 v[12:13], v[98:99], s[20:21], v[10:11]
	s_delay_alu instid0(VALU_DEP_1) | instskip(SKIP_1) | instid1(VALU_DEP_1)
	v_add_f64_e32 v[6:7], v[12:13], v[6:7]
	v_mul_f64_e32 v[12:13], s[30:31], v[102:103]
	v_fma_f64 v[18:19], v[104:105], s[16:17], -v[12:13]
	s_delay_alu instid0(VALU_DEP_1) | instskip(SKIP_1) | instid1(VALU_DEP_1)
	v_add_f64_e32 v[2:3], v[18:19], v[2:3]
	v_mul_f64_e32 v[18:19], s[30:31], v[100:101]
	v_fma_f64 v[20:21], v[106:107], s[16:17], v[18:19]
	s_delay_alu instid0(VALU_DEP_1) | instskip(SKIP_1) | instid1(VALU_DEP_1)
	v_add_f64_e32 v[6:7], v[20:21], v[6:7]
	v_mul_f64_e32 v[20:21], s[44:45], v[110:111]
	v_fma_f64 v[22:23], v[196:197], s[0:1], -v[20:21]
	s_delay_alu instid0(VALU_DEP_1) | instskip(SKIP_1) | instid1(VALU_DEP_1)
	;; [unrolled: 8-line block ×3, first 2 shown]
	v_add_f64_e32 v[180:181], v[30:31], v[2:3]
	v_mul_f64_e32 v[2:3], s[40:41], v[200:201]
	v_fma_f64 v[30:31], v[194:195], s[18:19], v[2:3]
	v_fma_f64 v[2:3], v[194:195], s[18:19], -v[2:3]
	s_delay_alu instid0(VALU_DEP_2) | instskip(SKIP_3) | instid1(VALU_DEP_3)
	v_add_f64_e32 v[182:183], v[30:31], v[6:7]
	v_fma_f64 v[6:7], v[96:97], s[20:21], v[8:9]
	v_mul_f64_e32 v[8:9], s[28:29], v[94:95]
	v_add_f64_e64 v[30:31], v[114:115], -v[134:135]
	v_add_f64_e32 v[0:1], v[6:7], v[0:1]
	v_fma_f64 v[6:7], v[98:99], s[20:21], -v[10:11]
	s_delay_alu instid0(VALU_DEP_4) | instskip(NEXT) | instid1(VALU_DEP_2)
	v_fma_f64 v[10:11], v[96:97], s[18:19], -v[8:9]
	v_add_f64_e32 v[4:5], v[6:7], v[4:5]
	v_fma_f64 v[6:7], v[104:105], s[16:17], v[12:13]
	s_delay_alu instid0(VALU_DEP_1) | instskip(SKIP_1) | instid1(VALU_DEP_1)
	v_add_f64_e32 v[0:1], v[6:7], v[0:1]
	v_fma_f64 v[6:7], v[106:107], s[16:17], -v[18:19]
	v_add_f64_e32 v[4:5], v[6:7], v[4:5]
	v_fma_f64 v[6:7], v[196:197], s[0:1], v[20:21]
	s_delay_alu instid0(VALU_DEP_1) | instskip(SKIP_1) | instid1(VALU_DEP_1)
	v_add_f64_e32 v[0:1], v[6:7], v[0:1]
	v_fma_f64 v[6:7], v[198:199], s[0:1], -v[22:23]
	v_add_f64_e32 v[4:5], v[6:7], v[4:5]
	v_fma_f64 v[6:7], v[192:193], s[18:19], v[24:25]
	s_delay_alu instid0(VALU_DEP_2) | instskip(NEXT) | instid1(VALU_DEP_2)
	v_add_f64_e32 v[178:179], v[2:3], v[4:5]
	v_add_f64_e32 v[176:177], v[6:7], v[0:1]
	v_mul_f64_e32 v[0:1], s[34:35], v[86:87]
	v_mul_f64_e32 v[4:5], s[34:35], v[84:85]
	s_delay_alu instid0(VALU_DEP_2) | instskip(NEXT) | instid1(VALU_DEP_2)
	v_fma_f64 v[2:3], v[88:89], s[16:17], -v[0:1]
	v_fma_f64 v[6:7], v[90:91], s[16:17], v[4:5]
	v_fma_f64 v[0:1], v[88:89], s[16:17], v[0:1]
	v_fma_f64 v[4:5], v[90:91], s[16:17], -v[4:5]
	s_delay_alu instid0(VALU_DEP_4) | instskip(NEXT) | instid1(VALU_DEP_4)
	v_add_f64_e32 v[2:3], v[2:3], v[26:27]
	v_add_f64_e32 v[6:7], v[6:7], v[72:73]
	s_delay_alu instid0(VALU_DEP_4) | instskip(NEXT) | instid1(VALU_DEP_4)
	v_add_f64_e32 v[0:1], v[0:1], v[16:17]
	v_add_f64_e32 v[4:5], v[4:5], v[36:37]
	v_mul_f64_e32 v[72:73], s[22:23], v[110:111]
	v_add_f64_e64 v[16:17], v[66:67], -v[146:147]
	v_add_f64_e64 v[36:37], v[118:119], -v[130:131]
	v_add_f64_e32 v[2:3], v[10:11], v[2:3]
	v_mul_f64_e32 v[10:11], s[28:29], v[92:93]
	s_delay_alu instid0(VALU_DEP_3) | instskip(NEXT) | instid1(VALU_DEP_2)
	v_mul_f64_e32 v[243:244], s[36:37], v[36:37]
	v_fma_f64 v[12:13], v[98:99], s[18:19], v[10:11]
	s_delay_alu instid0(VALU_DEP_1) | instskip(SKIP_1) | instid1(VALU_DEP_1)
	v_add_f64_e32 v[6:7], v[12:13], v[6:7]
	v_mul_f64_e32 v[12:13], s[44:45], v[102:103]
	v_fma_f64 v[14:15], v[104:105], s[0:1], -v[12:13]
	s_delay_alu instid0(VALU_DEP_1) | instskip(SKIP_1) | instid1(VALU_DEP_1)
	v_add_f64_e32 v[2:3], v[14:15], v[2:3]
	v_mul_f64_e32 v[14:15], s[44:45], v[100:101]
	v_fma_f64 v[18:19], v[106:107], s[0:1], v[14:15]
	s_delay_alu instid0(VALU_DEP_1) | instskip(SKIP_1) | instid1(VALU_DEP_1)
	v_add_f64_e32 v[6:7], v[18:19], v[6:7]
	v_mul_f64_e32 v[18:19], s[36:37], v[110:111]
	v_fma_f64 v[20:21], v[196:197], s[20:21], -v[18:19]
	s_delay_alu instid0(VALU_DEP_1) | instskip(SKIP_1) | instid1(VALU_DEP_1)
	v_add_f64_e32 v[2:3], v[20:21], v[2:3]
	;; [unrolled: 8-line block ×3, first 2 shown]
	v_mul_f64_e32 v[2:3], s[22:23], v[200:201]
	v_fma_f64 v[24:25], v[194:195], s[14:15], v[2:3]
	v_fma_f64 v[2:3], v[194:195], s[14:15], -v[2:3]
	s_delay_alu instid0(VALU_DEP_2) | instskip(SKIP_3) | instid1(VALU_DEP_3)
	v_add_f64_e32 v[190:191], v[24:25], v[6:7]
	v_fma_f64 v[6:7], v[96:97], s[18:19], v[8:9]
	v_fma_f64 v[8:9], v[96:97], s[8:9], -v[56:57]
	v_add_f64_e64 v[24:25], v[82:83], -v[138:139]
	v_add_f64_e32 v[0:1], v[6:7], v[0:1]
	v_fma_f64 v[6:7], v[98:99], s[18:19], -v[10:11]
	s_delay_alu instid0(VALU_DEP_1) | instskip(SKIP_1) | instid1(VALU_DEP_1)
	v_add_f64_e32 v[4:5], v[6:7], v[4:5]
	v_fma_f64 v[6:7], v[104:105], s[0:1], v[12:13]
	v_add_f64_e32 v[0:1], v[6:7], v[0:1]
	v_fma_f64 v[6:7], v[106:107], s[0:1], -v[14:15]
	s_delay_alu instid0(VALU_DEP_1) | instskip(SKIP_2) | instid1(VALU_DEP_2)
	v_add_f64_e32 v[4:5], v[6:7], v[4:5]
	v_fma_f64 v[6:7], v[196:197], s[20:21], v[18:19]
	v_add_f64_e64 v[18:19], v[70:71], -v[142:143]
	v_add_f64_e32 v[0:1], v[6:7], v[0:1]
	v_fma_f64 v[6:7], v[198:199], s[20:21], -v[20:21]
	v_add_f64_e64 v[20:21], v[64:65], -v[144:145]
	s_delay_alu instid0(VALU_DEP_2) | instskip(SKIP_2) | instid1(VALU_DEP_3)
	v_add_f64_e32 v[4:5], v[6:7], v[4:5]
	v_fma_f64 v[6:7], v[192:193], s[14:15], v[22:23]
	v_add_f64_e64 v[22:23], v[68:69], -v[140:141]
	v_add_f64_e32 v[186:187], v[2:3], v[4:5]
	s_delay_alu instid0(VALU_DEP_3) | instskip(SKIP_1) | instid1(VALU_DEP_1)
	v_add_f64_e32 v[184:185], v[6:7], v[0:1]
	v_mul_f64_e32 v[0:1], s[36:37], v[86:87]
	v_fma_f64 v[2:3], v[88:89], s[20:21], -v[0:1]
	v_fma_f64 v[0:1], v[88:89], s[20:21], v[0:1]
	s_delay_alu instid0(VALU_DEP_2) | instskip(SKIP_1) | instid1(VALU_DEP_3)
	v_add_f64_e32 v[4:5], v[2:3], v[28:29]
	v_mul_f64_e32 v[2:3], s[36:37], v[84:85]
	v_add_f64_e32 v[0:1], v[0:1], v[52:53]
	v_add_f64_e64 v[28:29], v[80:81], -v[136:137]
	s_delay_alu instid0(VALU_DEP_4) | instskip(NEXT) | instid1(VALU_DEP_4)
	v_add_f64_e32 v[8:9], v[8:9], v[4:5]
	v_fma_f64 v[6:7], v[90:91], s[20:21], v[2:3]
	v_mul_f64_e32 v[4:5], s[24:25], v[92:93]
	v_fma_f64 v[2:3], v[90:91], s[20:21], -v[2:3]
	s_delay_alu instid0(VALU_DEP_3) | instskip(NEXT) | instid1(VALU_DEP_3)
	v_add_f64_e32 v[6:7], v[6:7], v[74:75]
	v_fma_f64 v[10:11], v[98:99], s[8:9], v[4:5]
	v_fma_f64 v[4:5], v[98:99], s[8:9], -v[4:5]
	s_delay_alu instid0(VALU_DEP_4)
	v_add_f64_e32 v[2:3], v[2:3], v[54:55]
	v_mul_f64_e32 v[74:75], s[34:35], v[202:203]
	v_add_f64_e32 v[202:203], v[66:67], v[146:147]
	v_add_f64_e32 v[10:11], v[10:11], v[6:7]
	v_mul_f64_e32 v[6:7], s[40:41], v[102:103]
	v_add_f64_e32 v[2:3], v[4:5], v[2:3]
	v_fma_f64 v[4:5], v[196:197], s[14:15], v[72:73]
	v_fma_f64 v[92:93], v[192:193], s[16:17], -v[74:75]
	s_delay_alu instid0(VALU_DEP_4) | instskip(SKIP_2) | instid1(VALU_DEP_3)
	v_fma_f64 v[12:13], v[104:105], s[18:19], -v[6:7]
	v_fma_f64 v[6:7], v[104:105], s[18:19], v[6:7]
	v_add_f64_e64 v[104:105], v[122:123], -v[126:127]
	v_add_f64_e32 v[8:9], v[12:13], v[8:9]
	v_fma_f64 v[12:13], v[106:107], s[18:19], v[58:59]
	s_delay_alu instid0(VALU_DEP_3) | instskip(NEXT) | instid1(VALU_DEP_2)
	v_mul_f64_e32 v[247:248], s[22:23], v[104:105]
	v_add_f64_e32 v[10:11], v[12:13], v[10:11]
	v_fma_f64 v[12:13], v[196:197], s[14:15], -v[72:73]
	v_mul_f64_e32 v[72:73], s[22:23], v[18:19]
	s_delay_alu instid0(VALU_DEP_2) | instskip(SKIP_2) | instid1(VALU_DEP_3)
	v_add_f64_e32 v[84:85], v[12:13], v[8:9]
	v_fma_f64 v[8:9], v[198:199], s[14:15], v[78:79]
	v_mul_f64_e32 v[12:13], s[28:29], v[22:23]
	v_add_f64_e32 v[231:232], v[92:93], v[84:85]
	s_delay_alu instid0(VALU_DEP_3) | instskip(SKIP_4) | instid1(VALU_DEP_4)
	v_add_f64_e32 v[86:87], v[8:9], v[10:11]
	v_fma_f64 v[8:9], v[194:195], s[16:17], v[76:77]
	v_fma_f64 v[10:11], v[106:107], s[18:19], -v[58:59]
	v_fma_f64 v[14:15], v[206:207], s[18:19], -v[12:13]
	v_mov_b32_e32 v59, v40
	v_add_f64_e32 v[233:234], v[8:9], v[86:87]
	v_fma_f64 v[8:9], v[96:97], s[8:9], v[56:57]
	v_add_f64_e32 v[2:3], v[10:11], v[2:3]
	s_delay_alu instid0(VALU_DEP_2) | instskip(SKIP_2) | instid1(VALU_DEP_3)
	v_add_f64_e32 v[0:1], v[8:9], v[0:1]
	v_fma_f64 v[8:9], v[198:199], s[14:15], -v[78:79]
	v_mul_f64_e32 v[198:199], s[26:27], v[104:105]
	v_add_f64_e32 v[0:1], v[6:7], v[0:1]
	s_delay_alu instid0(VALU_DEP_3)
	v_add_f64_e32 v[2:3], v[8:9], v[2:3]
	v_fma_f64 v[6:7], v[194:195], s[16:17], -v[76:77]
	v_add_f64_e32 v[8:9], v[68:69], v[140:141]
	v_mul_f64_e32 v[194:195], s[30:31], v[28:29]
	v_mul_f64_e32 v[76:77], s[22:23], v[22:23]
	v_add_f64_e32 v[0:1], v[4:5], v[0:1]
	v_fma_f64 v[4:5], v[192:193], s[16:17], v[74:75]
	v_add_f64_e32 v[237:238], v[6:7], v[2:3]
	v_mul_f64_e32 v[192:193], s[38:39], v[20:21]
	v_fma_f64 v[54:55], v[8:9], s[14:15], -v[72:73]
	v_mul_f64_e32 v[74:75], s[28:29], v[20:21]
	v_fma_f64 v[78:79], v[206:207], s[14:15], v[76:77]
	v_fma_f64 v[72:73], v[8:9], s[14:15], v[72:73]
	v_add_f64_e32 v[235:236], v[4:5], v[0:1]
	v_add_f64_e32 v[4:5], v[64:65], v[144:145]
	v_mul_f64_e32 v[0:1], s[38:39], v[16:17]
	s_delay_alu instid0(VALU_DEP_1) | instskip(NEXT) | instid1(VALU_DEP_1)
	v_fma_f64 v[2:3], v[4:5], s[20:21], v[0:1]
	v_add_f64_e32 v[6:7], v[60:61], v[2:3]
	v_mul_f64_e32 v[2:3], s[28:29], v[18:19]
	s_delay_alu instid0(VALU_DEP_1) | instskip(NEXT) | instid1(VALU_DEP_1)
	v_fma_f64 v[10:11], v[8:9], s[18:19], v[2:3]
	v_add_f64_e32 v[10:11], v[10:11], v[6:7]
	v_fma_f64 v[6:7], v[202:203], s[20:21], -v[192:193]
	s_delay_alu instid0(VALU_DEP_1) | instskip(NEXT) | instid1(VALU_DEP_1)
	v_add_f64_e32 v[6:7], v[62:63], v[6:7]
	v_add_f64_e32 v[14:15], v[14:15], v[6:7]
	v_mul_f64_e32 v[6:7], s[30:31], v[24:25]
	s_delay_alu instid0(VALU_DEP_1) | instskip(NEXT) | instid1(VALU_DEP_1)
	v_fma_f64 v[26:27], v[204:205], s[16:17], v[6:7]
	v_add_f64_e32 v[26:27], v[26:27], v[10:11]
	v_fma_f64 v[10:11], v[212:213], s[16:17], -v[194:195]
	s_delay_alu instid0(VALU_DEP_1) | instskip(SKIP_1) | instid1(VALU_DEP_1)
	v_add_f64_e32 v[14:15], v[10:11], v[14:15]
	v_mul_f64_e32 v[10:11], s[22:23], v[30:31]
	v_fma_f64 v[32:33], v[208:209], s[14:15], v[10:11]
	s_delay_alu instid0(VALU_DEP_1) | instskip(SKIP_1) | instid1(VALU_DEP_1)
	v_add_f64_e32 v[26:27], v[32:33], v[26:27]
	v_add_f64_e64 v[32:33], v[112:113], -v[132:133]
	v_mul_f64_e32 v[196:197], s[22:23], v[32:33]
	s_delay_alu instid0(VALU_DEP_1) | instskip(NEXT) | instid1(VALU_DEP_1)
	v_fma_f64 v[34:35], v[216:217], s[14:15], -v[196:197]
	v_add_f64_e32 v[34:35], v[34:35], v[14:15]
	v_mul_f64_e32 v[14:15], s[24:25], v[36:37]
	s_delay_alu instid0(VALU_DEP_1) | instskip(NEXT) | instid1(VALU_DEP_1)
	v_fma_f64 v[38:39], v[214:215], s[8:9], v[14:15]
	v_add_f64_e32 v[26:27], v[38:39], v[26:27]
	v_add_f64_e64 v[38:39], v[116:117], -v[128:129]
	s_delay_alu instid0(VALU_DEP_1) | instskip(SKIP_1) | instid1(VALU_DEP_2)
	v_mul_f64_e32 v[200:201], s[24:25], v[38:39]
	v_mul_f64_e32 v[245:246], s[36:37], v[38:39]
	v_fma_f64 v[52:53], v[220:221], s[8:9], -v[200:201]
	s_delay_alu instid0(VALU_DEP_1) | instskip(SKIP_1) | instid1(VALU_DEP_1)
	v_add_f64_e32 v[34:35], v[52:53], v[34:35]
	v_fma_f64 v[52:53], v[218:219], s[0:1], v[198:199]
	v_add_f64_e32 v[41:42], v[52:53], v[26:27]
	v_add_f64_e64 v[26:27], v[120:121], -v[124:125]
	s_delay_alu instid0(VALU_DEP_1) | instskip(NEXT) | instid1(VALU_DEP_1)
	v_mul_f64_e32 v[210:211], s[26:27], v[26:27]
	v_fma_f64 v[52:53], v[222:223], s[0:1], -v[210:211]
	s_delay_alu instid0(VALU_DEP_1) | instskip(SKIP_4) | instid1(VALU_DEP_2)
	v_add_f64_e32 v[43:44], v[52:53], v[34:35]
	v_mul_f64_e32 v[34:35], s[28:29], v[16:17]
	scratch_store_b128 off, v[41:44], off offset:16 ; 16-byte Folded Spill
	v_fma_f64 v[52:53], v[4:5], s[18:19], -v[34:35]
	v_fma_f64 v[34:35], v[4:5], s[18:19], v[34:35]
	v_add_f64_e32 v[52:53], v[60:61], v[52:53]
	s_delay_alu instid0(VALU_DEP_2) | instskip(NEXT) | instid1(VALU_DEP_2)
	v_add_f64_e32 v[34:35], v[60:61], v[34:35]
	v_add_f64_e32 v[52:53], v[54:55], v[52:53]
	v_fma_f64 v[54:55], v[202:203], s[18:19], v[74:75]
	s_delay_alu instid0(VALU_DEP_3) | instskip(SKIP_2) | instid1(VALU_DEP_4)
	v_add_f64_e32 v[34:35], v[72:73], v[34:35]
	v_fma_f64 v[72:73], v[202:203], s[18:19], -v[74:75]
	v_fma_f64 v[74:75], v[206:207], s[14:15], -v[76:77]
	v_add_f64_e32 v[54:55], v[62:63], v[54:55]
	s_delay_alu instid0(VALU_DEP_3) | instskip(NEXT) | instid1(VALU_DEP_2)
	v_add_f64_e32 v[72:73], v[62:63], v[72:73]
	v_add_f64_e32 v[54:55], v[78:79], v[54:55]
	v_mul_f64_e32 v[78:79], s[26:27], v[24:25]
	s_delay_alu instid0(VALU_DEP_3) | instskip(NEXT) | instid1(VALU_DEP_2)
	v_add_f64_e32 v[72:73], v[74:75], v[72:73]
	v_fma_f64 v[84:85], v[204:205], s[0:1], -v[78:79]
	v_fma_f64 v[74:75], v[204:205], s[0:1], v[78:79]
	s_delay_alu instid0(VALU_DEP_2) | instskip(SKIP_1) | instid1(VALU_DEP_3)
	v_add_f64_e32 v[52:53], v[84:85], v[52:53]
	v_mul_f64_e32 v[84:85], s[26:27], v[28:29]
	v_add_f64_e32 v[34:35], v[74:75], v[34:35]
	s_delay_alu instid0(VALU_DEP_2) | instskip(SKIP_2) | instid1(VALU_DEP_3)
	v_fma_f64 v[86:87], v[212:213], s[0:1], v[84:85]
	v_fma_f64 v[74:75], v[212:213], s[0:1], -v[84:85]
	v_mul_f64_e32 v[84:85], s[26:27], v[18:19]
	v_add_f64_e32 v[54:55], v[86:87], v[54:55]
	v_mul_f64_e32 v[86:87], s[42:43], v[30:31]
	s_delay_alu instid0(VALU_DEP_4) | instskip(NEXT) | instid1(VALU_DEP_4)
	v_add_f64_e32 v[72:73], v[74:75], v[72:73]
	v_fma_f64 v[78:79], v[8:9], s[0:1], -v[84:85]
	v_fma_f64 v[84:85], v[8:9], s[0:1], v[84:85]
	s_delay_alu instid0(VALU_DEP_4) | instskip(SKIP_2) | instid1(VALU_DEP_3)
	v_fma_f64 v[88:89], v[208:209], s[8:9], -v[86:87]
	v_fma_f64 v[74:75], v[208:209], s[8:9], v[86:87]
	v_mul_f64_e32 v[86:87], s[30:31], v[20:21]
	v_add_f64_e32 v[52:53], v[88:89], v[52:53]
	v_mul_f64_e32 v[88:89], s[42:43], v[32:33]
	s_delay_alu instid0(VALU_DEP_4) | instskip(NEXT) | instid1(VALU_DEP_2)
	v_add_f64_e32 v[34:35], v[74:75], v[34:35]
	v_fma_f64 v[90:91], v[216:217], s[8:9], v[88:89]
	v_fma_f64 v[74:75], v[216:217], s[8:9], -v[88:89]
	v_mul_f64_e32 v[88:89], s[26:27], v[22:23]
	s_delay_alu instid0(VALU_DEP_3) | instskip(SKIP_1) | instid1(VALU_DEP_4)
	v_add_f64_e32 v[54:55], v[90:91], v[54:55]
	v_mul_f64_e32 v[90:91], s[34:35], v[36:37]
	v_add_f64_e32 v[72:73], v[74:75], v[72:73]
	s_delay_alu instid0(VALU_DEP_2) | instskip(SKIP_2) | instid1(VALU_DEP_3)
	v_fma_f64 v[92:93], v[214:215], s[16:17], -v[90:91]
	v_fma_f64 v[74:75], v[214:215], s[16:17], v[90:91]
	v_fma_f64 v[90:91], v[206:207], s[0:1], v[88:89]
	v_add_f64_e32 v[52:53], v[92:93], v[52:53]
	v_mul_f64_e32 v[92:93], s[34:35], v[38:39]
	s_delay_alu instid0(VALU_DEP_4) | instskip(NEXT) | instid1(VALU_DEP_2)
	v_add_f64_e32 v[34:35], v[74:75], v[34:35]
	v_fma_f64 v[94:95], v[220:221], s[16:17], v[92:93]
	v_fma_f64 v[74:75], v[220:221], s[16:17], -v[92:93]
	s_delay_alu instid0(VALU_DEP_2) | instskip(SKIP_1) | instid1(VALU_DEP_3)
	v_add_f64_e32 v[54:55], v[94:95], v[54:55]
	v_mul_f64_e32 v[94:95], s[36:37], v[104:105]
	v_add_f64_e32 v[74:75], v[74:75], v[72:73]
	s_delay_alu instid0(VALU_DEP_2) | instskip(SKIP_1) | instid1(VALU_DEP_2)
	v_fma_f64 v[96:97], v[218:219], s[20:21], -v[94:95]
	v_fma_f64 v[72:73], v[218:219], s[20:21], v[94:95]
	v_add_f64_e32 v[41:42], v[96:97], v[52:53]
	v_mul_f64_e32 v[96:97], s[36:37], v[26:27]
	s_delay_alu instid0(VALU_DEP_1) | instskip(SKIP_1) | instid1(VALU_DEP_2)
	v_fma_f64 v[98:99], v[222:223], s[20:21], v[96:97]
	v_fma_f64 v[76:77], v[222:223], s[20:21], -v[96:97]
	v_add_f64_e32 v[43:44], v[98:99], v[54:55]
	scratch_store_b128 off, v[41:44], off   ; 16-byte Folded Spill
	v_add_f64_e32 v[41:42], v[72:73], v[34:35]
	v_mul_f64_e32 v[34:35], s[30:31], v[16:17]
	v_add_f64_e32 v[43:44], v[76:77], v[74:75]
	s_delay_alu instid0(VALU_DEP_2)
	v_fma_f64 v[76:77], v[4:5], s[16:17], -v[34:35]
	v_fma_f64 v[34:35], v[4:5], s[16:17], v[34:35]
	scratch_store_b128 off, v[41:44], off offset:32 ; 16-byte Folded Spill
	global_wb scope:SCOPE_SE
	s_wait_storecnt 0x0
	s_wait_kmcnt 0x0
	s_barrier_signal -1
	s_barrier_wait -1
	global_inv scope:SCOPE_SE
	v_add_f64_e32 v[76:77], v[60:61], v[76:77]
	v_add_f64_e32 v[34:35], v[60:61], v[34:35]
	s_delay_alu instid0(VALU_DEP_2) | instskip(SKIP_1) | instid1(VALU_DEP_3)
	v_add_f64_e32 v[76:77], v[78:79], v[76:77]
	v_fma_f64 v[78:79], v[202:203], s[16:17], v[86:87]
	v_add_f64_e32 v[34:35], v[84:85], v[34:35]
	v_fma_f64 v[84:85], v[202:203], s[16:17], -v[86:87]
	v_fma_f64 v[86:87], v[206:207], s[0:1], -v[88:89]
	s_delay_alu instid0(VALU_DEP_4) | instskip(NEXT) | instid1(VALU_DEP_3)
	v_add_f64_e32 v[78:79], v[62:63], v[78:79]
	v_add_f64_e32 v[84:85], v[62:63], v[84:85]
	s_delay_alu instid0(VALU_DEP_2) | instskip(SKIP_1) | instid1(VALU_DEP_3)
	v_add_f64_e32 v[78:79], v[90:91], v[78:79]
	v_mul_f64_e32 v[90:91], s[46:47], v[24:25]
	v_add_f64_e32 v[84:85], v[86:87], v[84:85]
	s_delay_alu instid0(VALU_DEP_2) | instskip(SKIP_1) | instid1(VALU_DEP_2)
	v_fma_f64 v[92:93], v[204:205], s[14:15], -v[90:91]
	v_fma_f64 v[86:87], v[204:205], s[14:15], v[90:91]
	v_add_f64_e32 v[76:77], v[92:93], v[76:77]
	v_mul_f64_e32 v[92:93], s[46:47], v[28:29]
	s_delay_alu instid0(VALU_DEP_3) | instskip(NEXT) | instid1(VALU_DEP_2)
	v_add_f64_e32 v[34:35], v[86:87], v[34:35]
	v_fma_f64 v[94:95], v[212:213], s[14:15], v[92:93]
	v_fma_f64 v[86:87], v[212:213], s[14:15], -v[92:93]
	v_mul_f64_e32 v[92:93], s[42:43], v[18:19]
	s_delay_alu instid0(VALU_DEP_3) | instskip(SKIP_1) | instid1(VALU_DEP_4)
	v_add_f64_e32 v[78:79], v[94:95], v[78:79]
	v_mul_f64_e32 v[94:95], s[36:37], v[30:31]
	v_add_f64_e32 v[84:85], v[86:87], v[84:85]
	s_delay_alu instid0(VALU_DEP_4) | instskip(SKIP_1) | instid1(VALU_DEP_4)
	v_fma_f64 v[90:91], v[8:9], s[8:9], -v[92:93]
	v_fma_f64 v[92:93], v[8:9], s[8:9], v[92:93]
	v_fma_f64 v[96:97], v[208:209], s[20:21], -v[94:95]
	v_fma_f64 v[86:87], v[208:209], s[20:21], v[94:95]
	v_mul_f64_e32 v[94:95], s[22:23], v[20:21]
	s_delay_alu instid0(VALU_DEP_3) | instskip(SKIP_1) | instid1(VALU_DEP_4)
	v_add_f64_e32 v[76:77], v[96:97], v[76:77]
	v_mul_f64_e32 v[96:97], s[36:37], v[32:33]
	v_add_f64_e32 v[34:35], v[86:87], v[34:35]
	s_delay_alu instid0(VALU_DEP_2) | instskip(SKIP_2) | instid1(VALU_DEP_3)
	v_fma_f64 v[98:99], v[216:217], s[20:21], v[96:97]
	v_fma_f64 v[86:87], v[216:217], s[20:21], -v[96:97]
	v_mul_f64_e32 v[96:97], s[42:43], v[22:23]
	v_add_f64_e32 v[78:79], v[98:99], v[78:79]
	v_mul_f64_e32 v[98:99], s[28:29], v[36:37]
	s_delay_alu instid0(VALU_DEP_4) | instskip(NEXT) | instid1(VALU_DEP_2)
	v_add_f64_e32 v[84:85], v[86:87], v[84:85]
	v_fma_f64 v[100:101], v[214:215], s[18:19], -v[98:99]
	v_fma_f64 v[86:87], v[214:215], s[18:19], v[98:99]
	v_fma_f64 v[98:99], v[206:207], s[8:9], v[96:97]
	s_delay_alu instid0(VALU_DEP_3) | instskip(SKIP_1) | instid1(VALU_DEP_4)
	v_add_f64_e32 v[76:77], v[100:101], v[76:77]
	v_mul_f64_e32 v[100:101], s[28:29], v[38:39]
	v_add_f64_e32 v[34:35], v[86:87], v[34:35]
	s_delay_alu instid0(VALU_DEP_2) | instskip(SKIP_1) | instid1(VALU_DEP_2)
	v_fma_f64 v[102:103], v[220:221], s[18:19], v[100:101]
	v_fma_f64 v[86:87], v[220:221], s[18:19], -v[100:101]
	v_add_f64_e32 v[78:79], v[102:103], v[78:79]
	v_mul_f64_e32 v[102:103], s[24:25], v[104:105]
	s_delay_alu instid0(VALU_DEP_3) | instskip(NEXT) | instid1(VALU_DEP_2)
	v_add_f64_e32 v[86:87], v[86:87], v[84:85]
	v_fma_f64 v[106:107], v[218:219], s[8:9], -v[102:103]
	v_fma_f64 v[84:85], v[218:219], s[8:9], v[102:103]
	s_delay_alu instid0(VALU_DEP_2) | instskip(SKIP_1) | instid1(VALU_DEP_3)
	v_add_f64_e32 v[76:77], v[106:107], v[76:77]
	v_mul_f64_e32 v[106:107], s[24:25], v[26:27]
	v_add_f64_e32 v[84:85], v[84:85], v[34:35]
	v_mul_f64_e32 v[34:35], s[22:23], v[16:17]
	s_delay_alu instid0(VALU_DEP_3) | instskip(SKIP_1) | instid1(VALU_DEP_2)
	v_fma_f64 v[88:89], v[222:223], s[8:9], -v[106:107]
	v_fma_f64 v[108:109], v[222:223], s[8:9], v[106:107]
	v_add_f64_e32 v[86:87], v[88:89], v[86:87]
	s_delay_alu instid0(VALU_DEP_4) | instskip(SKIP_1) | instid1(VALU_DEP_4)
	v_fma_f64 v[88:89], v[4:5], s[14:15], -v[34:35]
	v_fma_f64 v[34:35], v[4:5], s[14:15], v[34:35]
	v_add_f64_e32 v[78:79], v[108:109], v[78:79]
	s_delay_alu instid0(VALU_DEP_3) | instskip(NEXT) | instid1(VALU_DEP_3)
	v_add_f64_e32 v[88:89], v[60:61], v[88:89]
	v_add_f64_e32 v[34:35], v[60:61], v[34:35]
	s_delay_alu instid0(VALU_DEP_2) | instskip(SKIP_1) | instid1(VALU_DEP_3)
	v_add_f64_e32 v[88:89], v[90:91], v[88:89]
	v_fma_f64 v[90:91], v[202:203], s[14:15], v[94:95]
	v_add_f64_e32 v[34:35], v[92:93], v[34:35]
	v_fma_f64 v[92:93], v[202:203], s[14:15], -v[94:95]
	v_fma_f64 v[94:95], v[206:207], s[8:9], -v[96:97]
	s_delay_alu instid0(VALU_DEP_4) | instskip(NEXT) | instid1(VALU_DEP_3)
	v_add_f64_e32 v[90:91], v[62:63], v[90:91]
	v_add_f64_e32 v[92:93], v[62:63], v[92:93]
	s_delay_alu instid0(VALU_DEP_2) | instskip(SKIP_1) | instid1(VALU_DEP_3)
	v_add_f64_e32 v[90:91], v[98:99], v[90:91]
	v_mul_f64_e32 v[98:99], s[36:37], v[24:25]
	v_add_f64_e32 v[92:93], v[94:95], v[92:93]
	s_delay_alu instid0(VALU_DEP_2) | instskip(SKIP_3) | instid1(VALU_DEP_4)
	v_fma_f64 v[100:101], v[204:205], s[20:21], -v[98:99]
	v_fma_f64 v[94:95], v[204:205], s[20:21], v[98:99]
	v_mul_f64_e32 v[98:99], s[34:35], v[18:19]
	v_mul_f64_e32 v[18:19], s[36:37], v[18:19]
	v_add_f64_e32 v[88:89], v[100:101], v[88:89]
	v_mul_f64_e32 v[100:101], s[36:37], v[28:29]
	v_add_f64_e32 v[34:35], v[94:95], v[34:35]
	s_delay_alu instid0(VALU_DEP_2) | instskip(SKIP_3) | instid1(VALU_DEP_4)
	v_fma_f64 v[102:103], v[212:213], s[20:21], v[100:101]
	v_fma_f64 v[94:95], v[212:213], s[20:21], -v[100:101]
	v_fma_f64 v[100:101], v[8:9], s[16:17], -v[98:99]
	v_fma_f64 v[98:99], v[8:9], s[16:17], v[98:99]
	v_add_f64_e32 v[90:91], v[102:103], v[90:91]
	v_mul_f64_e32 v[102:103], s[30:31], v[30:31]
	v_add_f64_e32 v[92:93], v[94:95], v[92:93]
	s_delay_alu instid0(VALU_DEP_2) | instskip(SKIP_1) | instid1(VALU_DEP_2)
	v_fma_f64 v[106:107], v[208:209], s[16:17], -v[102:103]
	v_fma_f64 v[94:95], v[208:209], s[16:17], v[102:103]
	v_add_f64_e32 v[88:89], v[106:107], v[88:89]
	v_mul_f64_e32 v[106:107], s[30:31], v[32:33]
	s_delay_alu instid0(VALU_DEP_3) | instskip(NEXT) | instid1(VALU_DEP_2)
	v_add_f64_e32 v[34:35], v[94:95], v[34:35]
	v_fma_f64 v[108:109], v[216:217], s[16:17], v[106:107]
	v_fma_f64 v[94:95], v[216:217], s[16:17], -v[106:107]
	v_mul_f64_e32 v[106:107], s[24:25], v[20:21]
	v_mul_f64_e32 v[20:21], s[26:27], v[20:21]
	s_delay_alu instid0(VALU_DEP_4) | instskip(SKIP_3) | instid1(VALU_DEP_3)
	v_add_f64_e32 v[90:91], v[108:109], v[90:91]
	v_mul_f64_e32 v[108:109], s[44:45], v[36:37]
	v_add_f64_e32 v[92:93], v[94:95], v[92:93]
	v_mul_f64_e32 v[36:37], s[22:23], v[36:37]
	v_fma_f64 v[110:111], v[214:215], s[0:1], -v[108:109]
	v_fma_f64 v[94:95], v[214:215], s[0:1], v[108:109]
	v_mul_f64_e32 v[108:109], s[34:35], v[22:23]
	v_mul_f64_e32 v[22:23], s[36:37], v[22:23]
	s_delay_alu instid0(VALU_DEP_4) | instskip(SKIP_4) | instid1(VALU_DEP_4)
	v_add_f64_e32 v[88:89], v[110:111], v[88:89]
	v_mul_f64_e32 v[110:111], s[44:45], v[38:39]
	v_add_f64_e32 v[34:35], v[94:95], v[34:35]
	v_fma_f64 v[102:103], v[206:207], s[16:17], v[108:109]
	v_mul_f64_e32 v[38:39], s[22:23], v[38:39]
	v_fma_f64 v[225:226], v[220:221], s[0:1], v[110:111]
	v_fma_f64 v[94:95], v[220:221], s[0:1], -v[110:111]
	v_mul_f64_e32 v[110:111], s[28:29], v[24:25]
	v_mul_f64_e32 v[24:25], s[24:25], v[24:25]
	s_delay_alu instid0(VALU_DEP_4) | instskip(SKIP_3) | instid1(VALU_DEP_3)
	v_add_f64_e32 v[90:91], v[225:226], v[90:91]
	v_mul_f64_e32 v[225:226], s[40:41], v[104:105]
	v_add_f64_e32 v[94:95], v[94:95], v[92:93]
	v_mul_f64_e32 v[104:105], s[34:35], v[104:105]
	v_fma_f64 v[239:240], v[218:219], s[18:19], -v[225:226]
	v_fma_f64 v[92:93], v[218:219], s[18:19], v[225:226]
	v_mul_f64_e32 v[225:226], s[28:29], v[28:29]
	v_mul_f64_e32 v[28:29], s[24:25], v[28:29]
	s_delay_alu instid0(VALU_DEP_4) | instskip(SKIP_4) | instid1(VALU_DEP_4)
	v_add_f64_e32 v[88:89], v[239:240], v[88:89]
	v_mul_f64_e32 v[239:240], s[40:41], v[26:27]
	v_add_f64_e32 v[92:93], v[92:93], v[34:35]
	v_mul_f64_e32 v[34:35], s[24:25], v[16:17]
	v_mul_f64_e32 v[16:17], s[26:27], v[16:17]
	v_fma_f64 v[96:97], v[222:223], s[18:19], -v[239:240]
	v_fma_f64 v[241:242], v[222:223], s[18:19], v[239:240]
	v_mul_f64_e32 v[239:240], s[44:45], v[30:31]
	v_mul_f64_e32 v[30:31], s[40:41], v[30:31]
	s_delay_alu instid0(VALU_DEP_4)
	v_add_f64_e32 v[94:95], v[96:97], v[94:95]
	v_fma_f64 v[96:97], v[4:5], s[8:9], -v[34:35]
	v_fma_f64 v[34:35], v[4:5], s[8:9], v[34:35]
	v_add_f64_e32 v[90:91], v[241:242], v[90:91]
	v_mul_f64_e32 v[241:242], s[44:45], v[32:33]
	v_mul_f64_e32 v[32:33], s[40:41], v[32:33]
	v_add_f64_e32 v[96:97], v[60:61], v[96:97]
	v_add_f64_e32 v[34:35], v[60:61], v[34:35]
	s_delay_alu instid0(VALU_DEP_2) | instskip(SKIP_1) | instid1(VALU_DEP_3)
	v_add_f64_e32 v[96:97], v[100:101], v[96:97]
	v_fma_f64 v[100:101], v[202:203], s[8:9], v[106:107]
	v_add_f64_e32 v[34:35], v[98:99], v[34:35]
	v_fma_f64 v[98:99], v[202:203], s[8:9], -v[106:107]
	v_fma_f64 v[106:107], v[206:207], s[16:17], -v[108:109]
	s_delay_alu instid0(VALU_DEP_4) | instskip(NEXT) | instid1(VALU_DEP_3)
	v_add_f64_e32 v[100:101], v[62:63], v[100:101]
	v_add_f64_e32 v[98:99], v[62:63], v[98:99]
	s_delay_alu instid0(VALU_DEP_2) | instskip(SKIP_1) | instid1(VALU_DEP_3)
	v_add_f64_e32 v[100:101], v[102:103], v[100:101]
	v_fma_f64 v[102:103], v[204:205], s[18:19], -v[110:111]
	v_add_f64_e32 v[98:99], v[106:107], v[98:99]
	v_fma_f64 v[106:107], v[204:205], s[18:19], v[110:111]
	s_delay_alu instid0(VALU_DEP_3) | instskip(SKIP_1) | instid1(VALU_DEP_3)
	v_add_f64_e32 v[96:97], v[102:103], v[96:97]
	v_fma_f64 v[102:103], v[212:213], s[18:19], v[225:226]
	v_add_f64_e32 v[34:35], v[106:107], v[34:35]
	v_fma_f64 v[106:107], v[212:213], s[18:19], -v[225:226]
	s_delay_alu instid0(VALU_DEP_3) | instskip(SKIP_1) | instid1(VALU_DEP_3)
	v_add_f64_e32 v[100:101], v[102:103], v[100:101]
	v_fma_f64 v[102:103], v[208:209], s[0:1], -v[239:240]
	v_add_f64_e32 v[98:99], v[106:107], v[98:99]
	v_fma_f64 v[106:107], v[208:209], s[0:1], v[239:240]
	s_delay_alu instid0(VALU_DEP_3) | instskip(SKIP_1) | instid1(VALU_DEP_3)
	v_add_f64_e32 v[96:97], v[102:103], v[96:97]
	v_fma_f64 v[102:103], v[216:217], s[0:1], v[241:242]
	v_add_f64_e32 v[34:35], v[106:107], v[34:35]
	v_fma_f64 v[106:107], v[216:217], s[0:1], -v[241:242]
	s_delay_alu instid0(VALU_DEP_3) | instskip(SKIP_1) | instid1(VALU_DEP_3)
	;; [unrolled: 10-line block ×3, first 2 shown]
	v_add_f64_e32 v[102:103], v[102:103], v[100:101]
	v_fma_f64 v[100:101], v[218:219], s[14:15], -v[247:248]
	v_add_f64_e32 v[98:99], v[106:107], v[98:99]
	v_fma_f64 v[106:107], v[218:219], s[14:15], v[247:248]
	s_delay_alu instid0(VALU_DEP_3) | instskip(SKIP_2) | instid1(VALU_DEP_2)
	v_add_f64_e32 v[100:101], v[100:101], v[96:97]
	v_mul_f64_e32 v[96:97], s[22:23], v[26:27]
	v_mul_f64_e32 v[26:27], s[34:35], v[26:27]
	v_fma_f64 v[249:250], v[222:223], s[14:15], v[96:97]
	v_fma_f64 v[108:109], v[222:223], s[14:15], -v[96:97]
	v_add_f64_e32 v[96:97], v[106:107], v[34:35]
	v_fma_f64 v[34:35], v[4:5], s[0:1], -v[16:17]
	v_fma_f64 v[106:107], v[8:9], s[20:21], -v[18:19]
	v_fma_f64 v[16:17], v[4:5], s[0:1], v[16:17]
	v_fma_f64 v[18:19], v[8:9], s[20:21], v[18:19]
	v_add_f64_e32 v[102:103], v[249:250], v[102:103]
	v_add_f64_e32 v[98:99], v[108:109], v[98:99]
	v_fma_f64 v[108:109], v[206:207], s[20:21], v[22:23]
	v_add_f64_e32 v[34:35], v[60:61], v[34:35]
	v_add_f64_e32 v[16:17], v[60:61], v[16:17]
	s_delay_alu instid0(VALU_DEP_2) | instskip(SKIP_1) | instid1(VALU_DEP_3)
	v_add_f64_e32 v[34:35], v[106:107], v[34:35]
	v_fma_f64 v[106:107], v[202:203], s[0:1], v[20:21]
	v_add_f64_e32 v[16:17], v[18:19], v[16:17]
	v_fma_f64 v[18:19], v[202:203], s[0:1], -v[20:21]
	v_fma_f64 v[20:21], v[206:207], s[20:21], -v[22:23]
	;; [unrolled: 1-line block ×3, first 2 shown]
	v_add_f64_e32 v[106:107], v[62:63], v[106:107]
	s_delay_alu instid0(VALU_DEP_4) | instskip(NEXT) | instid1(VALU_DEP_2)
	v_add_f64_e32 v[18:19], v[62:63], v[18:19]
	v_add_f64_e32 v[106:107], v[108:109], v[106:107]
	v_fma_f64 v[108:109], v[204:205], s[8:9], -v[24:25]
	s_delay_alu instid0(VALU_DEP_3) | instskip(SKIP_1) | instid1(VALU_DEP_3)
	v_add_f64_e32 v[18:19], v[20:21], v[18:19]
	v_fma_f64 v[20:21], v[204:205], s[8:9], v[24:25]
	v_add_f64_e32 v[34:35], v[108:109], v[34:35]
	v_fma_f64 v[108:109], v[212:213], s[8:9], v[28:29]
	s_delay_alu instid0(VALU_DEP_3) | instskip(SKIP_1) | instid1(VALU_DEP_3)
	v_add_f64_e32 v[16:17], v[20:21], v[16:17]
	v_fma_f64 v[20:21], v[212:213], s[8:9], -v[28:29]
	v_add_f64_e32 v[106:107], v[108:109], v[106:107]
	v_fma_f64 v[108:109], v[208:209], s[18:19], -v[30:31]
	s_delay_alu instid0(VALU_DEP_3) | instskip(SKIP_1) | instid1(VALU_DEP_3)
	v_add_f64_e32 v[18:19], v[20:21], v[18:19]
	v_fma_f64 v[20:21], v[208:209], s[18:19], v[30:31]
	v_add_f64_e32 v[34:35], v[108:109], v[34:35]
	v_fma_f64 v[108:109], v[216:217], s[18:19], v[32:33]
	s_delay_alu instid0(VALU_DEP_3) | instskip(SKIP_1) | instid1(VALU_DEP_3)
	v_add_f64_e32 v[16:17], v[20:21], v[16:17]
	v_fma_f64 v[20:21], v[216:217], s[18:19], -v[32:33]
	;; [unrolled: 10-line block ×3, first 2 shown]
	v_add_f64_e32 v[106:107], v[108:109], v[106:107]
	v_fma_f64 v[108:109], v[218:219], s[16:17], -v[104:105]
	s_delay_alu instid0(VALU_DEP_3) | instskip(SKIP_1) | instid1(VALU_DEP_3)
	v_add_f64_e32 v[18:19], v[20:21], v[18:19]
	v_fma_f64 v[20:21], v[218:219], s[16:17], v[104:105]
	v_add_f64_e32 v[108:109], v[108:109], v[34:35]
	v_fma_f64 v[34:35], v[222:223], s[16:17], v[26:27]
	s_delay_alu instid0(VALU_DEP_3) | instskip(SKIP_2) | instid1(VALU_DEP_2)
	v_add_f64_e32 v[104:105], v[20:21], v[16:17]
	v_mul_lo_u16 v16, v230, 13
	v_add_co_u32 v17, null, v230, 13
	v_and_b32_e32 v16, 0xffff, v16
	s_delay_alu instid0(VALU_DEP_1)
	v_lshl_add_u32 v16, v16, 4, v59
	ds_store_b128 v16, v[148:151]
	ds_store_b128 v16, v[152:155] offset:16
	ds_store_b128 v16, v[164:167] offset:32
	;; [unrolled: 1-line block ×12, first 2 shown]
	v_add_f64_e32 v[110:111], v[34:35], v[106:107]
	v_add_f64_e32 v[106:107], v[22:23], v[18:19]
	v_mul_u32_u24_e32 v18, 13, v17
	scratch_store_b32 off, v18, off offset:288 ; 4-byte Folded Spill
	s_and_saveexec_b32 s22, vcc_lo
	s_cbranch_execz .LBB0_7
; %bb.6:
	v_add_f64_e32 v[18:19], v[62:63], v[66:67]
	v_add_f64_e32 v[20:21], v[60:61], v[64:65]
	v_mul_f64_e32 v[22:23], s[20:21], v[202:203]
	v_mul_f64_e32 v[4:5], s[20:21], v[4:5]
	;; [unrolled: 1-line block ×5, first 2 shown]
	v_add_f64_e32 v[18:19], v[18:19], v[70:71]
	v_add_f64_e32 v[20:21], v[20:21], v[68:69]
	;; [unrolled: 1-line block ×3, first 2 shown]
	v_add_f64_e64 v[0:1], v[4:5], -v[0:1]
	v_mul_f64_e32 v[4:5], s[16:17], v[204:205]
	v_add_f64_e32 v[12:13], v[12:13], v[24:25]
	v_add_f64_e64 v[2:3], v[8:9], -v[2:3]
	v_mul_f64_e32 v[24:25], s[14:15], v[216:217]
	v_add_f64_e32 v[26:27], v[194:195], v[26:27]
	v_add_f64_e32 v[18:19], v[18:19], v[82:83]
	;; [unrolled: 1-line block ×5, first 2 shown]
	v_add_f64_e64 v[4:5], v[4:5], -v[6:7]
	v_mul_f64_e32 v[22:23], s[14:15], v[208:209]
	v_add_f64_e32 v[18:19], v[18:19], v[114:115]
	v_add_f64_e32 v[20:21], v[20:21], v[112:113]
	;; [unrolled: 1-line block ×4, first 2 shown]
	v_mul_f64_e32 v[2:3], s[8:9], v[214:215]
	v_add_f64_e64 v[10:11], v[22:23], -v[10:11]
	v_mul_f64_e32 v[22:23], s[0:1], v[222:223]
	v_add_f64_e32 v[18:19], v[18:19], v[118:119]
	v_add_f64_e32 v[20:21], v[20:21], v[116:117]
	;; [unrolled: 1-line block ×4, first 2 shown]
	v_mul_f64_e32 v[4:5], s[0:1], v[218:219]
	v_add_f64_e64 v[2:3], v[2:3], -v[14:15]
	v_add_f64_e32 v[18:19], v[18:19], v[122:123]
	v_add_f64_e32 v[20:21], v[20:21], v[120:121]
	v_add_f64_e32 v[0:1], v[10:11], v[0:1]
	v_add_f64_e32 v[10:11], v[210:211], v[22:23]
	v_add_f64_e64 v[14:15], v[4:5], -v[198:199]
	v_add_f64_e32 v[18:19], v[18:19], v[126:127]
	v_add_f64_e32 v[20:21], v[20:21], v[124:125]
	;; [unrolled: 1-line block ×3, first 2 shown]
	s_delay_alu instid0(VALU_DEP_3) | instskip(NEXT) | instid1(VALU_DEP_3)
	v_add_f64_e32 v[8:9], v[18:19], v[130:131]
	v_add_f64_e32 v[12:13], v[20:21], v[128:129]
	v_mul_f64_e32 v[18:19], s[8:9], v[220:221]
	v_add_f64_e32 v[20:21], v[196:197], v[24:25]
	v_add_f64_e32 v[0:1], v[14:15], v[0:1]
	;; [unrolled: 1-line block ×6, first 2 shown]
	s_delay_alu instid0(VALU_DEP_4) | instskip(NEXT) | instid1(VALU_DEP_4)
	v_add_f64_e32 v[8:9], v[8:9], v[138:139]
	v_add_f64_e32 v[12:13], v[12:13], v[136:137]
	s_delay_alu instid0(VALU_DEP_3) | instskip(NEXT) | instid1(VALU_DEP_3)
	v_add_f64_e32 v[4:5], v[18:19], v[6:7]
	v_add_f64_e32 v[6:7], v[8:9], v[142:143]
	s_delay_alu instid0(VALU_DEP_3) | instskip(NEXT) | instid1(VALU_DEP_3)
	;; [unrolled: 3-line block ×3, first 2 shown]
	v_add_f64_e32 v[6:7], v[6:7], v[146:147]
	v_add_f64_e32 v[4:5], v[8:9], v[144:145]
	scratch_load_b128 v[9:12], off, off     ; 16-byte Folded Reload
	v_mul_u32_u24_e32 v8, 13, v17
	s_delay_alu instid0(VALU_DEP_1)
	v_lshl_add_u32 v8, v8, 4, v59
	s_wait_loadcnt 0x0
	ds_store_b128 v8, v[9:12] offset:32
	ds_store_b128 v8, v[76:79] offset:48
	ds_store_b128 v8, v[88:91] offset:64
	ds_store_b128 v8, v[100:103] offset:80
	ds_store_b128 v8, v[108:111] offset:96
	ds_store_b128 v8, v[104:107] offset:112
	ds_store_b128 v8, v[96:99] offset:128
	ds_store_b128 v8, v[92:95] offset:144
	ds_store_b128 v8, v[84:87] offset:160
	scratch_load_b128 v[9:12], off, off offset:32 ; 16-byte Folded Reload
	s_wait_loadcnt 0x0
	ds_store_b128 v8, v[9:12] offset:176
	ds_store_b128 v8, v[4:7]
	ds_store_b128 v8, v[0:3] offset:16
	scratch_load_b128 v[0:3], off, off offset:16 ; 16-byte Folded Reload
	s_wait_loadcnt 0x0
	ds_store_b128 v8, v[0:3] offset:192
.LBB0_7:
	s_wait_alu 0xfffe
	s_or_b32 exec_lo, exec_lo, s22
	v_lshlrev_b32_e32 v0, 6, v230
	global_wb scope:SCOPE_SE
	s_wait_storecnt_dscnt 0x0
	s_barrier_signal -1
	s_barrier_wait -1
	global_inv scope:SCOPE_SE
	s_clause 0x3
	global_load_b128 v[68:71], v0, s[2:3]
	global_load_b128 v[64:67], v0, s[2:3] offset:16
	global_load_b128 v[60:63], v0, s[2:3] offset:32
	;; [unrolled: 1-line block ×3, first 2 shown]
	ds_load_b128 v[112:115], v255 offset:624
	ds_load_b128 v[2:5], v255 offset:416
	;; [unrolled: 1-line block ×4, first 2 shown]
	v_add_co_u32 v1, null, v230, 26
	s_mov_b32 s14, 0x134454ff
	s_mov_b32 s15, 0x3fee6f0e
	;; [unrolled: 1-line block ×3, first 2 shown]
	s_wait_alu 0xfffe
	s_mov_b32 s16, s14
	s_mov_b32 s0, 0x4755a5e
	;; [unrolled: 1-line block ×4, first 2 shown]
	s_wait_alu 0xfffe
	s_mov_b32 s8, s0
	s_mov_b32 s18, 0x372fe950
	;; [unrolled: 1-line block ×3, first 2 shown]
	s_wait_loadcnt_dscnt 0x303
	v_mul_f64_e32 v[14:15], v[114:115], v[70:71]
	v_mul_f64_e32 v[18:19], v[112:113], v[70:71]
	s_wait_loadcnt_dscnt 0x201
	v_mul_f64_e32 v[20:21], v[8:9], v[66:67]
	v_mul_f64_e32 v[22:23], v[6:7], v[66:67]
	s_delay_alu instid0(VALU_DEP_4) | instskip(NEXT) | instid1(VALU_DEP_4)
	v_fma_f64 v[14:15], v[112:113], v[68:69], -v[14:15]
	v_fma_f64 v[18:19], v[114:115], v[68:69], v[18:19]
	s_delay_alu instid0(VALU_DEP_4) | instskip(NEXT) | instid1(VALU_DEP_4)
	v_fma_f64 v[20:21], v[6:7], v[64:65], -v[20:21]
	v_fma_f64 v[22:23], v[8:9], v[64:65], v[22:23]
	ds_load_b128 v[6:9], v255 offset:1872
	ds_load_b128 v[112:115], v255 offset:1664
	s_wait_loadcnt_dscnt 0x101
	v_mul_f64_e32 v[24:25], v[8:9], v[62:63]
	s_delay_alu instid0(VALU_DEP_1) | instskip(SKIP_1) | instid1(VALU_DEP_2)
	v_fma_f64 v[24:25], v[6:7], v[60:61], -v[24:25]
	v_mul_f64_e32 v[6:7], v[6:7], v[62:63]
	v_add_f64_e64 v[146:147], v[20:21], -v[24:25]
	s_delay_alu instid0(VALU_DEP_2)
	v_fma_f64 v[26:27], v[8:9], v[60:61], v[6:7]
	ds_load_b128 v[6:9], v255 offset:2496
	ds_load_b128 v[116:119], v255 offset:2704
	s_wait_loadcnt_dscnt 0x1
	v_mul_f64_e32 v[28:29], v[8:9], v[82:83]
	v_add_f64_e64 v[142:143], v[22:23], -v[26:27]
	s_delay_alu instid0(VALU_DEP_2) | instskip(SKIP_1) | instid1(VALU_DEP_2)
	v_fma_f64 v[28:29], v[6:7], v[80:81], -v[28:29]
	v_mul_f64_e32 v[6:7], v[6:7], v[82:83]
	v_add_f64_e64 v[144:145], v[14:15], -v[28:29]
	s_delay_alu instid0(VALU_DEP_2)
	v_fma_f64 v[30:31], v[8:9], v[80:81], v[6:7]
	ds_load_b128 v[6:9], v255 offset:832
	ds_load_b128 v[128:131], v255 offset:1040
	s_wait_dscnt 0x1
	v_mul_f64_e32 v[32:33], v[8:9], v[70:71]
	v_add_f64_e64 v[140:141], v[18:19], -v[30:31]
	s_delay_alu instid0(VALU_DEP_2) | instskip(SKIP_1) | instid1(VALU_DEP_1)
	v_fma_f64 v[32:33], v[6:7], v[68:69], -v[32:33]
	v_mul_f64_e32 v[6:7], v[6:7], v[70:71]
	v_fma_f64 v[34:35], v[8:9], v[68:69], v[6:7]
	v_mul_f64_e32 v[6:7], v[12:13], v[66:67]
	s_delay_alu instid0(VALU_DEP_1) | instskip(SKIP_1) | instid1(VALU_DEP_1)
	v_fma_f64 v[36:37], v[10:11], v[64:65], -v[6:7]
	v_mul_f64_e32 v[6:7], v[10:11], v[66:67]
	v_fma_f64 v[38:39], v[12:13], v[64:65], v[6:7]
	ds_load_b128 v[6:9], v255 offset:2080
	ds_load_b128 v[10:13], v255 offset:2288
	s_wait_dscnt 0x1
	v_mul_f64_e32 v[120:121], v[8:9], v[62:63]
	s_delay_alu instid0(VALU_DEP_1) | instskip(SKIP_1) | instid1(VALU_DEP_2)
	v_fma_f64 v[152:153], v[6:7], v[60:61], -v[120:121]
	v_mul_f64_e32 v[6:7], v[6:7], v[62:63]
	v_add_f64_e64 v[160:161], v[36:37], -v[152:153]
	s_delay_alu instid0(VALU_DEP_2) | instskip(SKIP_1) | instid1(VALU_DEP_1)
	v_fma_f64 v[154:155], v[8:9], v[60:61], v[6:7]
	v_mul_f64_e32 v[6:7], v[118:119], v[82:83]
	v_fma_f64 v[156:157], v[116:117], v[80:81], -v[6:7]
	v_mul_f64_e32 v[6:7], v[116:117], v[82:83]
	s_delay_alu instid0(VALU_DEP_1) | instskip(SKIP_1) | instid1(VALU_DEP_1)
	v_fma_f64 v[158:159], v[118:119], v[80:81], v[6:7]
	v_and_b32_e32 v6, 0xff, v1
	v_mul_lo_u16 v6, 0x4f, v6
	s_delay_alu instid0(VALU_DEP_1) | instskip(NEXT) | instid1(VALU_DEP_1)
	v_lshrrev_b16 v6, 10, v6
	v_mul_lo_u16 v6, v6, 13
	s_delay_alu instid0(VALU_DEP_1) | instskip(NEXT) | instid1(VALU_DEP_1)
	v_sub_nc_u16 v40, v1, v6
	v_lshlrev_b16 v6, 2, v40
	s_delay_alu instid0(VALU_DEP_1) | instskip(NEXT) | instid1(VALU_DEP_1)
	v_and_b32_e32 v6, 0xfc, v6
	v_lshlrev_b32_e32 v8, 4, v6
	s_clause 0x1
	global_load_b128 v[124:127], v8, s[2:3]
	global_load_b128 v[120:123], v8, s[2:3] offset:16
	s_wait_loadcnt 0x1
	v_mul_f64_e32 v[6:7], v[130:131], v[126:127]
	s_delay_alu instid0(VALU_DEP_1) | instskip(SKIP_1) | instid1(VALU_DEP_1)
	v_fma_f64 v[168:169], v[128:129], v[124:125], -v[6:7]
	v_mul_f64_e32 v[6:7], v[128:129], v[126:127]
	v_fma_f64 v[170:171], v[130:131], v[124:125], v[6:7]
	s_clause 0x1
	global_load_b128 v[132:135], v8, s[2:3] offset:32
	global_load_b128 v[128:131], v8, s[2:3] offset:48
	s_wait_loadcnt 0x2
	v_mul_f64_e32 v[6:7], v[114:115], v[122:123]
	s_delay_alu instid0(VALU_DEP_1) | instskip(SKIP_2) | instid1(VALU_DEP_2)
	v_fma_f64 v[172:173], v[112:113], v[120:121], -v[6:7]
	v_mul_f64_e32 v[6:7], v[112:113], v[122:123]
	v_add_f64_e32 v[112:113], v[20:21], v[24:25]
	v_fma_f64 v[174:175], v[114:115], v[120:121], v[6:7]
	s_wait_loadcnt_dscnt 0x100
	v_mul_f64_e32 v[6:7], v[12:13], v[134:135]
	s_delay_alu instid0(VALU_DEP_1) | instskip(SKIP_1) | instid1(VALU_DEP_1)
	v_fma_f64 v[176:177], v[10:11], v[132:133], -v[6:7]
	v_mul_f64_e32 v[6:7], v[10:11], v[134:135]
	v_fma_f64 v[178:179], v[12:13], v[132:133], v[6:7]
	ds_load_b128 v[6:9], v255 offset:2912
	s_wait_loadcnt_dscnt 0x0
	v_mul_f64_e32 v[10:11], v[8:9], v[130:131]
	s_delay_alu instid0(VALU_DEP_1) | instskip(SKIP_1) | instid1(VALU_DEP_1)
	v_fma_f64 v[180:181], v[6:7], v[128:129], -v[10:11]
	v_mul_f64_e32 v[6:7], v[6:7], v[130:131]
	v_fma_f64 v[182:183], v[8:9], v[128:129], v[6:7]
	v_add_f64_e64 v[6:7], v[14:15], -v[20:21]
	v_add_f64_e64 v[8:9], v[28:29], -v[24:25]
	s_delay_alu instid0(VALU_DEP_1) | instskip(SKIP_2) | instid1(VALU_DEP_1)
	v_add_f64_e32 v[116:117], v[6:7], v[8:9]
	v_add_f64_e64 v[6:7], v[18:19], -v[22:23]
	v_add_f64_e64 v[8:9], v[30:31], -v[26:27]
	v_add_f64_e32 v[118:119], v[6:7], v[8:9]
	ds_load_b128 v[6:9], v255
	ds_load_b128 v[10:13], v255 offset:208
	global_wb scope:SCOPE_SE
	s_wait_dscnt 0x0
	s_barrier_signal -1
	s_barrier_wait -1
	global_inv scope:SCOPE_SE
	v_fma_f64 v[136:137], v[112:113], -0.5, v[6:7]
	v_add_f64_e32 v[112:113], v[22:23], v[26:27]
	s_delay_alu instid0(VALU_DEP_1) | instskip(NEXT) | instid1(VALU_DEP_3)
	v_fma_f64 v[138:139], v[112:113], -0.5, v[8:9]
	v_fma_f64 v[112:113], v[140:141], s[14:15], v[136:137]
	v_fma_f64 v[136:137], v[140:141], s[16:17], v[136:137]
	s_delay_alu instid0(VALU_DEP_3) | instskip(SKIP_1) | instid1(VALU_DEP_4)
	v_fma_f64 v[114:115], v[144:145], s[16:17], v[138:139]
	v_fma_f64 v[138:139], v[144:145], s[14:15], v[138:139]
	;; [unrolled: 1-line block ×3, first 2 shown]
	s_wait_alu 0xfffe
	s_delay_alu instid0(VALU_DEP_4) | instskip(NEXT) | instid1(VALU_DEP_4)
	v_fma_f64 v[136:137], v[142:143], s[8:9], v[136:137]
	v_fma_f64 v[114:115], v[146:147], s[8:9], v[114:115]
	s_delay_alu instid0(VALU_DEP_4) | instskip(NEXT) | instid1(VALU_DEP_4)
	v_fma_f64 v[138:139], v[146:147], s[0:1], v[138:139]
	v_fma_f64 v[112:113], v[116:117], s[18:19], v[112:113]
	s_delay_alu instid0(VALU_DEP_4) | instskip(SKIP_4) | instid1(VALU_DEP_4)
	v_fma_f64 v[116:117], v[116:117], s[18:19], v[136:137]
	v_add_f64_e32 v[136:137], v[14:15], v[28:29]
	v_fma_f64 v[114:115], v[118:119], s[18:19], v[114:115]
	v_fma_f64 v[118:119], v[118:119], s[18:19], v[138:139]
	v_add_f64_e32 v[138:139], v[18:19], v[30:31]
	v_fma_f64 v[136:137], v[136:137], -0.5, v[6:7]
	v_add_f64_e32 v[6:7], v[6:7], v[14:15]
	v_add_f64_e64 v[14:15], v[20:21], -v[14:15]
	s_delay_alu instid0(VALU_DEP_4) | instskip(SKIP_4) | instid1(VALU_DEP_4)
	v_fma_f64 v[138:139], v[138:139], -0.5, v[8:9]
	v_add_f64_e32 v[8:9], v[8:9], v[18:19]
	v_add_f64_e64 v[18:19], v[22:23], -v[18:19]
	v_add_f64_e32 v[6:7], v[6:7], v[20:21]
	v_add_f64_e64 v[20:21], v[24:25], -v[28:29]
	;; [unrolled: 2-line block ×3, first 2 shown]
	s_delay_alu instid0(VALU_DEP_4)
	v_add_f64_e32 v[6:7], v[6:7], v[24:25]
	v_fma_f64 v[24:25], v[142:143], s[16:17], v[136:137]
	v_add_f64_e32 v[14:15], v[14:15], v[20:21]
	v_add_f64_e32 v[8:9], v[8:9], v[26:27]
	v_fma_f64 v[26:27], v[142:143], s[14:15], v[136:137]
	v_add_f64_e32 v[6:7], v[6:7], v[28:29]
	v_fma_f64 v[28:29], v[146:147], s[14:15], v[138:139]
	;; [unrolled: 2-line block ×4, first 2 shown]
	v_fma_f64 v[22:23], v[140:141], s[8:9], v[26:27]
	v_fma_f64 v[24:25], v[144:145], s[8:9], v[28:29]
	;; [unrolled: 1-line block ×3, first 2 shown]
	v_add_f64_e64 v[20:21], v[158:159], -v[154:155]
	v_fma_f64 v[26:27], v[144:145], s[0:1], v[30:31]
	v_fma_f64 v[140:141], v[14:15], s[18:19], v[22:23]
	;; [unrolled: 1-line block ×3, first 2 shown]
	v_add_f64_e64 v[14:15], v[32:33], -v[36:37]
	v_add_f64_e32 v[22:23], v[38:39], v[154:155]
	v_add_f64_e64 v[24:25], v[34:35], -v[158:159]
	v_add_f64_e64 v[30:31], v[32:33], -v[156:157]
	v_fma_f64 v[142:143], v[18:19], s[18:19], v[26:27]
	v_add_f64_e64 v[18:19], v[156:157], -v[152:153]
	v_add_f64_e64 v[26:27], v[38:39], -v[154:155]
	v_fma_f64 v[22:23], v[22:23], -0.5, v[12:13]
	s_delay_alu instid0(VALU_DEP_3) | instskip(SKIP_1) | instid1(VALU_DEP_3)
	v_add_f64_e32 v[14:15], v[14:15], v[18:19]
	v_add_f64_e64 v[18:19], v[34:35], -v[38:39]
	v_fma_f64 v[144:145], v[30:31], s[16:17], v[22:23]
	v_fma_f64 v[22:23], v[30:31], s[14:15], v[22:23]
	s_delay_alu instid0(VALU_DEP_3) | instskip(SKIP_1) | instid1(VALU_DEP_4)
	v_add_f64_e32 v[18:19], v[18:19], v[20:21]
	v_add_f64_e32 v[20:21], v[36:37], v[152:153]
	v_fma_f64 v[146:147], v[160:161], s[8:9], v[144:145]
	s_delay_alu instid0(VALU_DEP_4) | instskip(NEXT) | instid1(VALU_DEP_3)
	v_fma_f64 v[22:23], v[160:161], s[0:1], v[22:23]
	v_fma_f64 v[20:21], v[20:21], -0.5, v[10:11]
	s_delay_alu instid0(VALU_DEP_3) | instskip(NEXT) | instid1(VALU_DEP_3)
	v_fma_f64 v[146:147], v[18:19], s[18:19], v[146:147]
	v_fma_f64 v[150:151], v[18:19], s[18:19], v[22:23]
	v_add_f64_e32 v[18:19], v[34:35], v[158:159]
	v_add_f64_e64 v[22:23], v[38:39], -v[34:35]
	v_fma_f64 v[28:29], v[24:25], s[14:15], v[20:21]
	v_fma_f64 v[20:21], v[24:25], s[16:17], v[20:21]
	s_delay_alu instid0(VALU_DEP_4) | instskip(SKIP_1) | instid1(VALU_DEP_4)
	v_fma_f64 v[18:19], v[18:19], -0.5, v[12:13]
	v_add_f64_e32 v[12:13], v[12:13], v[34:35]
	v_fma_f64 v[28:29], v[26:27], s[0:1], v[28:29]
	s_delay_alu instid0(VALU_DEP_4) | instskip(NEXT) | instid1(VALU_DEP_3)
	v_fma_f64 v[20:21], v[26:27], s[8:9], v[20:21]
	v_add_f64_e32 v[12:13], v[12:13], v[38:39]
	s_delay_alu instid0(VALU_DEP_3) | instskip(NEXT) | instid1(VALU_DEP_3)
	v_fma_f64 v[144:145], v[14:15], s[18:19], v[28:29]
	v_fma_f64 v[148:149], v[14:15], s[18:19], v[20:21]
	v_add_f64_e32 v[14:15], v[32:33], v[156:157]
	v_add_f64_e64 v[20:21], v[36:37], -v[32:33]
	v_add_f64_e64 v[28:29], v[152:153], -v[156:157]
	v_add_f64_e32 v[12:13], v[12:13], v[154:155]
	s_delay_alu instid0(VALU_DEP_4)
	v_fma_f64 v[14:15], v[14:15], -0.5, v[10:11]
	v_add_f64_e32 v[10:11], v[10:11], v[32:33]
	v_add_f64_e64 v[32:33], v[154:155], -v[158:159]
	v_add_f64_e32 v[20:21], v[20:21], v[28:29]
	v_add_f64_e32 v[12:13], v[12:13], v[158:159]
	v_fma_f64 v[34:35], v[26:27], s[16:17], v[14:15]
	v_add_f64_e32 v[10:11], v[10:11], v[36:37]
	v_fma_f64 v[14:15], v[26:27], s[14:15], v[14:15]
	v_fma_f64 v[26:27], v[160:161], s[14:15], v[18:19]
	;; [unrolled: 1-line block ×3, first 2 shown]
	v_add_f64_e32 v[22:23], v[22:23], v[32:33]
	v_add_f64_e64 v[32:33], v[168:169], -v[180:181]
	v_fma_f64 v[28:29], v[24:25], s[0:1], v[34:35]
	v_add_f64_e32 v[10:11], v[10:11], v[152:153]
	v_fma_f64 v[14:15], v[24:25], s[8:9], v[14:15]
	v_fma_f64 v[24:25], v[30:31], s[8:9], v[26:27]
	;; [unrolled: 1-line block ×3, first 2 shown]
	v_add_f64_e64 v[30:31], v[172:173], -v[176:177]
	v_add_f64_e64 v[26:27], v[170:171], -v[182:183]
	v_fma_f64 v[152:153], v[20:21], s[18:19], v[28:29]
	v_add_f64_e32 v[10:11], v[10:11], v[156:157]
	v_fma_f64 v[156:157], v[20:21], s[18:19], v[14:15]
	v_add_f64_e64 v[14:15], v[172:173], -v[168:169]
	v_fma_f64 v[158:159], v[22:23], s[18:19], v[18:19]
	v_add_f64_e64 v[18:19], v[176:177], -v[180:181]
	v_add_f64_e64 v[20:21], v[178:179], -v[182:183]
	v_fma_f64 v[154:155], v[22:23], s[18:19], v[24:25]
	v_add_f64_e32 v[22:23], v[170:171], v[182:183]
	v_add_f64_e64 v[24:25], v[174:175], -v[178:179]
	ds_store_b128 v255, v[6:9]
	ds_store_b128 v255, v[112:115] offset:208
	ds_store_b128 v255, v[136:139] offset:416
	;; [unrolled: 1-line block ×9, first 2 shown]
	v_and_b32_e32 v6, 0xff, v40
	v_add_f64_e32 v[14:15], v[14:15], v[18:19]
	v_add_f64_e64 v[18:19], v[174:175], -v[170:171]
	v_fma_f64 v[22:23], v[22:23], -0.5, v[4:5]
	s_delay_alu instid0(VALU_DEP_2) | instskip(SKIP_1) | instid1(VALU_DEP_3)
	v_add_f64_e32 v[18:19], v[18:19], v[20:21]
	v_add_f64_e32 v[20:21], v[168:169], v[180:181]
	v_fma_f64 v[34:35], v[30:31], s[14:15], v[22:23]
	v_fma_f64 v[22:23], v[30:31], s[16:17], v[22:23]
	s_delay_alu instid0(VALU_DEP_3) | instskip(NEXT) | instid1(VALU_DEP_3)
	v_fma_f64 v[20:21], v[20:21], -0.5, v[2:3]
	v_fma_f64 v[34:35], v[32:33], s[8:9], v[34:35]
	s_delay_alu instid0(VALU_DEP_3) | instskip(NEXT) | instid1(VALU_DEP_3)
	v_fma_f64 v[22:23], v[32:33], s[0:1], v[22:23]
	v_fma_f64 v[28:29], v[24:25], s[16:17], v[20:21]
	;; [unrolled: 1-line block ×3, first 2 shown]
	s_delay_alu instid0(VALU_DEP_4) | instskip(NEXT) | instid1(VALU_DEP_4)
	v_fma_f64 v[162:163], v[18:19], s[18:19], v[34:35]
	v_fma_f64 v[166:167], v[18:19], s[18:19], v[22:23]
	v_add_f64_e32 v[18:19], v[174:175], v[178:179]
	v_add_f64_e64 v[22:23], v[170:171], -v[174:175]
	v_add_f64_e64 v[34:35], v[182:183], -v[178:179]
	v_fma_f64 v[28:29], v[26:27], s[0:1], v[28:29]
	v_fma_f64 v[20:21], v[26:27], s[8:9], v[20:21]
	v_fma_f64 v[18:19], v[18:19], -0.5, v[4:5]
	v_add_f64_e32 v[4:5], v[4:5], v[170:171]
	v_add_f64_e32 v[22:23], v[22:23], v[34:35]
	v_fma_f64 v[160:161], v[14:15], s[18:19], v[28:29]
	v_fma_f64 v[164:165], v[14:15], s[18:19], v[20:21]
	v_add_f64_e32 v[14:15], v[172:173], v[176:177]
	v_add_f64_e64 v[20:21], v[168:169], -v[172:173]
	v_add_f64_e64 v[28:29], v[180:181], -v[176:177]
	v_add_f64_e32 v[4:5], v[4:5], v[174:175]
	s_delay_alu instid0(VALU_DEP_4) | instskip(SKIP_1) | instid1(VALU_DEP_4)
	v_fma_f64 v[14:15], v[14:15], -0.5, v[2:3]
	v_add_f64_e32 v[2:3], v[2:3], v[168:169]
	v_add_f64_e32 v[20:21], v[20:21], v[28:29]
	s_delay_alu instid0(VALU_DEP_4) | instskip(NEXT) | instid1(VALU_DEP_4)
	v_add_f64_e32 v[4:5], v[4:5], v[178:179]
	v_fma_f64 v[36:37], v[26:27], s[14:15], v[14:15]
	s_delay_alu instid0(VALU_DEP_4)
	v_add_f64_e32 v[2:3], v[2:3], v[172:173]
	v_fma_f64 v[14:15], v[26:27], s[16:17], v[14:15]
	v_fma_f64 v[26:27], v[32:33], s[16:17], v[18:19]
	;; [unrolled: 1-line block ×3, first 2 shown]
	v_add_f64_e32 v[4:5], v[4:5], v[182:183]
	v_fma_f64 v[28:29], v[24:25], s[0:1], v[36:37]
	v_add_f64_e32 v[2:3], v[2:3], v[176:177]
	v_fma_f64 v[14:15], v[24:25], s[8:9], v[14:15]
	v_fma_f64 v[24:25], v[30:31], s[8:9], v[26:27]
	;; [unrolled: 1-line block ×3, first 2 shown]
	v_add_co_u32 v0, s0, s2, v0
	v_fma_f64 v[168:169], v[20:21], s[18:19], v[28:29]
	v_add_f64_e32 v[2:3], v[2:3], v[180:181]
	v_fma_f64 v[172:173], v[20:21], s[18:19], v[14:15]
	v_fma_f64 v[170:171], v[22:23], s[18:19], v[24:25]
	;; [unrolled: 1-line block ×3, first 2 shown]
	v_lshl_add_u32 v15, v6, 4, v59
	v_lshlrev_b32_e32 v14, 5, v230
	ds_store_b128 v15, v[2:5] offset:2080
	ds_store_b128 v15, v[168:171] offset:2288
	;; [unrolled: 1-line block ×5, first 2 shown]
	s_wait_alu 0xf1ff
	v_add_co_ci_u32_e64 v3, null, s3, 0, s0
	v_sub_co_u32 v2, s0, v0, v14
	global_wb scope:SCOPE_SE
	s_wait_dscnt 0x0
	s_wait_alu 0xf1ff
	v_subrev_co_ci_u32_e64 v3, s0, 0, v3, s0
	s_barrier_signal -1
	s_barrier_wait -1
	global_inv scope:SCOPE_SE
	s_clause 0x1
	global_load_b128 v[112:115], v[2:3], off offset:832
	global_load_b128 v[116:119], v[2:3], off offset:848
	ds_load_b128 v[2:5], v255 offset:1040
	ds_load_b128 v[6:9], v255 offset:832
	v_lshlrev_b32_e32 v0, 5, v17
	s_mov_b32 s0, 0xe8584caa
	s_mov_b32 s1, 0x3febb67a
	s_wait_loadcnt_dscnt 0x101
	v_mul_f64_e32 v[10:11], v[4:5], v[114:115]
	s_delay_alu instid0(VALU_DEP_1) | instskip(SKIP_1) | instid1(VALU_DEP_1)
	v_fma_f64 v[18:19], v[2:3], v[112:113], -v[10:11]
	v_mul_f64_e32 v[2:3], v[2:3], v[114:115]
	v_fma_f64 v[20:21], v[4:5], v[112:113], v[2:3]
	ds_load_b128 v[2:5], v255 offset:2080
	ds_load_b128 v[10:13], v255 offset:2288
	s_clause 0x1
	global_load_b128 v[140:143], v0, s[2:3] offset:832
	global_load_b128 v[136:139], v0, s[2:3] offset:848
	v_lshlrev_b32_e32 v0, 5, v1
	s_wait_loadcnt_dscnt 0x201
	v_mul_f64_e32 v[22:23], v[4:5], v[118:119]
	s_delay_alu instid0(VALU_DEP_1) | instskip(SKIP_1) | instid1(VALU_DEP_1)
	v_fma_f64 v[22:23], v[2:3], v[116:117], -v[22:23]
	v_mul_f64_e32 v[2:3], v[2:3], v[118:119]
	v_fma_f64 v[24:25], v[4:5], v[116:117], v[2:3]
	ds_load_b128 v[2:5], v255 offset:1248
	ds_load_b128 v[152:155], v255 offset:1456
	s_clause 0x1
	global_load_b128 v[148:151], v0, s[2:3] offset:832
	global_load_b128 v[144:147], v0, s[2:3] offset:848
	s_wait_loadcnt_dscnt 0x301
	v_mul_f64_e32 v[26:27], v[4:5], v[142:143]
	s_delay_alu instid0(VALU_DEP_1) | instskip(SKIP_1) | instid1(VALU_DEP_1)
	v_fma_f64 v[26:27], v[2:3], v[140:141], -v[26:27]
	v_mul_f64_e32 v[2:3], v[2:3], v[142:143]
	v_fma_f64 v[4:5], v[4:5], v[140:141], v[2:3]
	s_wait_loadcnt 0x2
	v_mul_f64_e32 v[2:3], v[12:13], v[138:139]
	s_wait_loadcnt_dscnt 0x100
	v_mul_f64_e32 v[0:1], v[154:155], v[150:151]
	s_delay_alu instid0(VALU_DEP_2) | instskip(SKIP_1) | instid1(VALU_DEP_3)
	v_fma_f64 v[28:29], v[10:11], v[136:137], -v[2:3]
	v_mul_f64_e32 v[2:3], v[10:11], v[138:139]
	v_fma_f64 v[32:33], v[152:153], v[148:149], -v[0:1]
	v_mul_f64_e32 v[0:1], v[152:153], v[150:151]
	s_delay_alu instid0(VALU_DEP_3) | instskip(NEXT) | instid1(VALU_DEP_2)
	v_fma_f64 v[30:31], v[12:13], v[136:137], v[2:3]
	v_fma_f64 v[34:35], v[154:155], v[148:149], v[0:1]
	ds_load_b128 v[0:3], v255 offset:2496
	ds_load_b128 v[10:13], v255 offset:2704
	s_wait_loadcnt_dscnt 0x1
	v_mul_f64_e32 v[36:37], v[2:3], v[146:147]
	s_delay_alu instid0(VALU_DEP_1) | instskip(SKIP_1) | instid1(VALU_DEP_1)
	v_fma_f64 v[36:37], v[0:1], v[144:145], -v[36:37]
	v_mul_f64_e32 v[0:1], v[0:1], v[146:147]
	v_fma_f64 v[38:39], v[2:3], v[144:145], v[0:1]
	v_add_nc_u32_e32 v0, 0x4e0, v14
	s_clause 0x1
	global_load_b128 v[156:159], v0, s[2:3] offset:832
	global_load_b128 v[152:155], v0, s[2:3] offset:848
	ds_load_b128 v[0:3], v255 offset:1664
	ds_load_b128 v[168:171], v255 offset:1872
	s_wait_loadcnt_dscnt 0x101
	v_mul_f64_e32 v[160:161], v[2:3], v[158:159]
	s_delay_alu instid0(VALU_DEP_1) | instskip(SKIP_1) | instid1(VALU_DEP_1)
	v_fma_f64 v[208:209], v[0:1], v[156:157], -v[160:161]
	v_mul_f64_e32 v[0:1], v[0:1], v[158:159]
	v_fma_f64 v[204:205], v[2:3], v[156:157], v[0:1]
	s_wait_loadcnt 0x0
	v_mul_f64_e32 v[0:1], v[12:13], v[154:155]
	s_delay_alu instid0(VALU_DEP_1) | instskip(SKIP_1) | instid1(VALU_DEP_1)
	v_fma_f64 v[210:211], v[10:11], v[152:153], -v[0:1]
	v_mul_f64_e32 v[0:1], v[10:11], v[154:155]
	v_fma_f64 v[206:207], v[12:13], v[152:153], v[0:1]
	v_add_nc_u32_e32 v0, 0x680, v14
	s_clause 0x1
	global_load_b128 v[164:167], v0, s[2:3] offset:832
	global_load_b128 v[160:163], v0, s[2:3] offset:848
	s_mov_b32 s3, 0xbfebb67a
	s_wait_alu 0xfffe
	s_mov_b32 s2, s0
	v_lshl_add_u32 v14, v230, 4, v59
	s_wait_loadcnt_dscnt 0x100
	v_mul_f64_e32 v[0:1], v[170:171], v[166:167]
	s_delay_alu instid0(VALU_DEP_1) | instskip(SKIP_2) | instid1(VALU_DEP_2)
	v_fma_f64 v[216:217], v[168:169], v[164:165], -v[0:1]
	v_mul_f64_e32 v[0:1], v[168:169], v[166:167]
	v_add_f64_e32 v[168:169], v[18:19], v[22:23]
	v_fma_f64 v[218:219], v[170:171], v[164:165], v[0:1]
	ds_load_b128 v[0:3], v255 offset:2912
	v_add_f64_e32 v[170:171], v[20:21], v[24:25]
	s_wait_loadcnt_dscnt 0x0
	v_mul_f64_e32 v[10:11], v[2:3], v[162:163]
	s_delay_alu instid0(VALU_DEP_1) | instskip(SKIP_1) | instid1(VALU_DEP_1)
	v_fma_f64 v[220:221], v[0:1], v[160:161], -v[10:11]
	v_mul_f64_e32 v[0:1], v[0:1], v[162:163]
	v_fma_f64 v[222:223], v[2:3], v[160:161], v[0:1]
	ds_load_b128 v[0:3], v255
	ds_load_b128 v[10:13], v255 offset:208
	s_wait_dscnt 0x1
	v_fma_f64 v[168:169], v[168:169], -0.5, v[0:1]
	v_fma_f64 v[170:171], v[170:171], -0.5, v[2:3]
	v_add_f64_e32 v[2:3], v[2:3], v[20:21]
	v_add_f64_e32 v[0:1], v[0:1], v[18:19]
	v_add_f64_e64 v[20:21], v[20:21], -v[24:25]
	v_add_f64_e64 v[17:18], v[18:19], -v[22:23]
	s_delay_alu instid0(VALU_DEP_4) | instskip(NEXT) | instid1(VALU_DEP_4)
	v_add_f64_e32 v[2:3], v[2:3], v[24:25]
	v_add_f64_e32 v[0:1], v[0:1], v[22:23]
	s_delay_alu instid0(VALU_DEP_4)
	v_fma_f64 v[176:177], v[20:21], s[0:1], v[168:169]
	s_wait_alu 0xfffe
	v_fma_f64 v[180:181], v[20:21], s[2:3], v[168:169]
	v_fma_f64 v[178:179], v[17:18], s[2:3], v[170:171]
	;; [unrolled: 1-line block ×3, first 2 shown]
	v_add_f64_e32 v[17:18], v[26:27], v[28:29]
	v_add_f64_e32 v[19:20], v[4:5], v[30:31]
	v_add_f64_e64 v[21:22], v[26:27], -v[28:29]
	ds_load_b128 v[168:171], v255 offset:416
	ds_load_b128 v[172:175], v255 offset:624
	v_add_f64_e64 v[23:24], v[34:35], -v[38:39]
	s_wait_dscnt 0x2
	v_fma_f64 v[17:18], v[17:18], -0.5, v[10:11]
	v_fma_f64 v[19:20], v[19:20], -0.5, v[12:13]
	v_add_f64_e32 v[12:13], v[12:13], v[4:5]
	v_add_f64_e64 v[4:5], v[4:5], -v[30:31]
	v_add_f64_e32 v[10:11], v[10:11], v[26:27]
	s_delay_alu instid0(VALU_DEP_4) | instskip(SKIP_1) | instid1(VALU_DEP_4)
	v_fma_f64 v[186:187], v[21:22], s[2:3], v[19:20]
	v_fma_f64 v[190:191], v[21:22], s[0:1], v[19:20]
	;; [unrolled: 1-line block ×4, first 2 shown]
	v_add_f64_e32 v[4:5], v[32:33], v[36:37]
	v_add_f64_e32 v[17:18], v[34:35], v[38:39]
	s_wait_dscnt 0x1
	v_add_f64_e32 v[19:20], v[170:171], v[34:35]
	v_add_f64_e32 v[21:22], v[168:169], v[32:33]
	;; [unrolled: 1-line block ×4, first 2 shown]
	v_fma_f64 v[4:5], v[4:5], -0.5, v[168:169]
	v_fma_f64 v[17:18], v[17:18], -0.5, v[170:171]
	v_add_f64_e32 v[194:195], v[19:20], v[38:39]
	v_add_f64_e64 v[19:20], v[32:33], -v[36:37]
	v_add_f64_e32 v[192:193], v[21:22], v[36:37]
	s_wait_dscnt 0x0
	v_add_f64_e32 v[21:22], v[172:173], v[208:209]
	v_fma_f64 v[196:197], v[23:24], s[0:1], v[4:5]
	v_fma_f64 v[200:201], v[23:24], s[2:3], v[4:5]
	v_add_f64_e32 v[4:5], v[208:209], v[210:211]
	v_fma_f64 v[198:199], v[19:20], s[2:3], v[17:18]
	v_fma_f64 v[202:203], v[19:20], s[0:1], v[17:18]
	v_add_f64_e32 v[17:18], v[204:205], v[206:207]
	v_add_f64_e32 v[19:20], v[174:175], v[204:205]
	v_add_f64_e64 v[23:24], v[204:205], -v[206:207]
	v_add_f64_e32 v[204:205], v[21:22], v[210:211]
	v_add_f64_e64 v[21:22], v[218:219], -v[222:223]
	v_fma_f64 v[4:5], v[4:5], -0.5, v[172:173]
	v_fma_f64 v[17:18], v[17:18], -0.5, v[174:175]
	v_add_f64_e32 v[206:207], v[19:20], v[206:207]
	v_add_f64_e64 v[19:20], v[208:209], -v[210:211]
	s_delay_alu instid0(VALU_DEP_4) | instskip(SKIP_2) | instid1(VALU_DEP_4)
	v_fma_f64 v[208:209], v[23:24], s[0:1], v[4:5]
	v_fma_f64 v[212:213], v[23:24], s[2:3], v[4:5]
	v_add_f64_e32 v[4:5], v[216:217], v[220:221]
	v_fma_f64 v[210:211], v[19:20], s[2:3], v[17:18]
	v_fma_f64 v[214:215], v[19:20], s[0:1], v[17:18]
	s_delay_alu instid0(VALU_DEP_3) | instskip(SKIP_1) | instid1(VALU_DEP_2)
	v_fma_f64 v[17:18], v[4:5], -0.5, v[6:7]
	v_add_f64_e32 v[4:5], v[218:219], v[222:223]
	v_fma_f64 v[168:169], v[21:22], s[0:1], v[17:18]
	s_delay_alu instid0(VALU_DEP_2) | instskip(SKIP_3) | instid1(VALU_DEP_3)
	v_fma_f64 v[19:20], v[4:5], -0.5, v[8:9]
	v_add_f64_e32 v[4:5], v[8:9], v[218:219]
	v_add_f64_e32 v[8:9], v[6:7], v[216:217]
	v_fma_f64 v[172:173], v[21:22], s[2:3], v[17:18]
	v_add_f64_e32 v[6:7], v[4:5], v[222:223]
	s_delay_alu instid0(VALU_DEP_3)
	v_add_f64_e32 v[4:5], v[8:9], v[220:221]
	v_add_f64_e64 v[8:9], v[216:217], -v[220:221]
	ds_store_b128 v14, v[10:13] offset:208
	ds_store_b128 v14, v[192:195] offset:416
	;; [unrolled: 1-line block ×12, first 2 shown]
	ds_store_b128 v255, v[0:3]
	v_fma_f64 v[170:171], v[8:9], s[2:3], v[19:20]
	v_fma_f64 v[174:175], v[8:9], s[0:1], v[19:20]
	s_add_nc_u64 s[0:1], s[12:13], 0xc30
	ds_store_b128 v255, v[168:171] offset:1872
	ds_store_b128 v255, v[172:175] offset:2912
	global_wb scope:SCOPE_SE
	s_wait_dscnt 0x0
	s_barrier_signal -1
	s_barrier_wait -1
	global_inv scope:SCOPE_SE
	s_clause 0x1
	global_load_b128 v[0:3], v[228:229], off offset:3120
	global_load_b128 v[4:7], v224, s[0:1] offset:240
	ds_load_b128 v[8:11], v255
	ds_load_b128 v[176:179], v255 offset:240
	s_wait_loadcnt_dscnt 0x101
	v_mul_f64_e32 v[12:13], v[10:11], v[2:3]
	v_mul_f64_e32 v[2:3], v[8:9], v[2:3]
	s_delay_alu instid0(VALU_DEP_2) | instskip(NEXT) | instid1(VALU_DEP_2)
	v_fma_f64 v[8:9], v[8:9], v[0:1], -v[12:13]
	v_fma_f64 v[10:11], v[10:11], v[0:1], v[2:3]
	s_wait_loadcnt_dscnt 0x0
	v_mul_f64_e32 v[0:1], v[178:179], v[6:7]
	v_mul_f64_e32 v[2:3], v[176:177], v[6:7]
	s_delay_alu instid0(VALU_DEP_2) | instskip(NEXT) | instid1(VALU_DEP_2)
	v_fma_f64 v[0:1], v[176:177], v[4:5], -v[0:1]
	v_fma_f64 v[2:3], v[178:179], v[4:5], v[2:3]
	s_clause 0x1
	global_load_b128 v[4:7], v224, s[0:1] offset:480
	global_load_b128 v[176:179], v224, s[0:1] offset:720
	ds_load_b128 v[180:183], v255 offset:480
	ds_load_b128 v[184:187], v255 offset:720
	s_wait_loadcnt_dscnt 0x101
	v_mul_f64_e32 v[12:13], v[182:183], v[6:7]
	v_mul_f64_e32 v[6:7], v[180:181], v[6:7]
	s_delay_alu instid0(VALU_DEP_2) | instskip(NEXT) | instid1(VALU_DEP_2)
	v_fma_f64 v[180:181], v[180:181], v[4:5], -v[12:13]
	v_fma_f64 v[182:183], v[182:183], v[4:5], v[6:7]
	s_wait_loadcnt_dscnt 0x0
	v_mul_f64_e32 v[4:5], v[186:187], v[178:179]
	v_mul_f64_e32 v[6:7], v[184:185], v[178:179]
	s_delay_alu instid0(VALU_DEP_2) | instskip(NEXT) | instid1(VALU_DEP_2)
	v_fma_f64 v[4:5], v[184:185], v[176:177], -v[4:5]
	v_fma_f64 v[6:7], v[186:187], v[176:177], v[6:7]
	s_clause 0x1
	global_load_b128 v[176:179], v224, s[0:1] offset:960
	global_load_b128 v[184:187], v224, s[0:1] offset:1200
	ds_load_b128 v[188:191], v255 offset:960
	;; [unrolled: 17-line block ×5, first 2 shown]
	ds_load_b128 v[216:219], v255 offset:2640
	s_wait_loadcnt_dscnt 0x101
	v_mul_f64_e32 v[12:13], v[214:215], v[202:203]
	v_mul_f64_e32 v[17:18], v[212:213], v[202:203]
	s_delay_alu instid0(VALU_DEP_2) | instskip(NEXT) | instid1(VALU_DEP_2)
	v_fma_f64 v[212:213], v[212:213], v[200:201], -v[12:13]
	v_fma_f64 v[214:215], v[214:215], v[200:201], v[17:18]
	s_wait_loadcnt_dscnt 0x0
	v_mul_f64_e32 v[12:13], v[218:219], v[210:211]
	v_mul_f64_e32 v[17:18], v[216:217], v[210:211]
	s_delay_alu instid0(VALU_DEP_2) | instskip(NEXT) | instid1(VALU_DEP_2)
	v_fma_f64 v[200:201], v[216:217], v[208:209], -v[12:13]
	v_fma_f64 v[202:203], v[218:219], v[208:209], v[17:18]
	global_load_b128 v[208:211], v224, s[0:1] offset:2880
	ds_load_b128 v[216:219], v255 offset:2880
	s_wait_loadcnt_dscnt 0x0
	v_mul_f64_e32 v[12:13], v[218:219], v[210:211]
	v_mul_f64_e32 v[17:18], v[216:217], v[210:211]
	s_delay_alu instid0(VALU_DEP_2) | instskip(NEXT) | instid1(VALU_DEP_2)
	v_fma_f64 v[216:217], v[216:217], v[208:209], -v[12:13]
	v_fma_f64 v[218:219], v[218:219], v[208:209], v[17:18]
	ds_store_b128 v255, v[8:11]
	ds_store_b128 v255, v[0:3] offset:240
	ds_store_b128 v255, v[180:183] offset:480
	;; [unrolled: 1-line block ×12, first 2 shown]
	s_and_saveexec_b32 s2, vcc_lo
	s_cbranch_execz .LBB0_9
; %bb.8:
	s_wait_alu 0xfffe
	v_add_co_u32 v0, s0, s0, v224
	s_wait_alu 0xf1ff
	v_add_co_ci_u32_e64 v1, null, s1, 0, s0
	s_clause 0x5
	global_load_b128 v[2:5], v[0:1], off offset:208
	global_load_b128 v[6:9], v[0:1], off offset:448
	;; [unrolled: 1-line block ×6, first 2 shown]
	ds_load_b128 v[188:191], v14 offset:208
	s_wait_loadcnt_dscnt 0x500
	v_mul_f64_e32 v[17:18], v[190:191], v[4:5]
	v_mul_f64_e32 v[4:5], v[188:189], v[4:5]
	s_delay_alu instid0(VALU_DEP_2) | instskip(NEXT) | instid1(VALU_DEP_2)
	v_fma_f64 v[188:189], v[188:189], v[2:3], -v[17:18]
	v_fma_f64 v[190:191], v[190:191], v[2:3], v[4:5]
	ds_store_b128 v14, v[188:191] offset:208
	ds_load_b128 v[2:5], v255 offset:448
	ds_load_b128 v[188:191], v255 offset:688
	s_wait_loadcnt_dscnt 0x401
	v_mul_f64_e32 v[17:18], v[4:5], v[8:9]
	v_mul_f64_e32 v[8:9], v[2:3], v[8:9]
	s_wait_loadcnt_dscnt 0x300
	v_mul_f64_e32 v[19:20], v[190:191], v[12:13]
	v_mul_f64_e32 v[12:13], v[188:189], v[12:13]
	s_delay_alu instid0(VALU_DEP_4) | instskip(NEXT) | instid1(VALU_DEP_4)
	v_fma_f64 v[2:3], v[2:3], v[6:7], -v[17:18]
	v_fma_f64 v[4:5], v[4:5], v[6:7], v[8:9]
	ds_load_b128 v[6:9], v255 offset:928
	ds_load_b128 v[192:195], v255 offset:1168
	v_fma_f64 v[188:189], v[188:189], v[10:11], -v[19:20]
	v_fma_f64 v[190:191], v[190:191], v[10:11], v[12:13]
	s_wait_loadcnt_dscnt 0x201
	v_mul_f64_e32 v[17:18], v[8:9], v[178:179]
	v_mul_f64_e32 v[10:11], v[6:7], v[178:179]
	s_wait_loadcnt_dscnt 0x100
	v_mul_f64_e32 v[19:20], v[194:195], v[182:183]
	v_mul_f64_e32 v[21:22], v[192:193], v[182:183]
	s_delay_alu instid0(VALU_DEP_4) | instskip(NEXT) | instid1(VALU_DEP_4)
	v_fma_f64 v[6:7], v[6:7], v[176:177], -v[17:18]
	v_fma_f64 v[8:9], v[8:9], v[176:177], v[10:11]
	ds_load_b128 v[176:179], v255 offset:1408
	global_load_b128 v[10:13], v[0:1], off offset:1648
	v_fma_f64 v[192:193], v[192:193], v[180:181], -v[19:20]
	v_fma_f64 v[194:195], v[194:195], v[180:181], v[21:22]
	ds_load_b128 v[180:183], v255 offset:1648
	s_wait_loadcnt_dscnt 0x101
	v_mul_f64_e32 v[17:18], v[178:179], v[186:187]
	v_mul_f64_e32 v[19:20], v[176:177], v[186:187]
	s_delay_alu instid0(VALU_DEP_2) | instskip(NEXT) | instid1(VALU_DEP_2)
	v_fma_f64 v[176:177], v[176:177], v[184:185], -v[17:18]
	v_fma_f64 v[178:179], v[178:179], v[184:185], v[19:20]
	global_load_b128 v[184:187], v[0:1], off offset:1888
	s_wait_loadcnt_dscnt 0x100
	v_mul_f64_e32 v[17:18], v[182:183], v[12:13]
	v_mul_f64_e32 v[12:13], v[180:181], v[12:13]
	s_delay_alu instid0(VALU_DEP_2) | instskip(NEXT) | instid1(VALU_DEP_2)
	v_fma_f64 v[180:181], v[180:181], v[10:11], -v[17:18]
	v_fma_f64 v[182:183], v[182:183], v[10:11], v[12:13]
	ds_load_b128 v[10:13], v255 offset:1888
	ds_load_b128 v[196:199], v255 offset:2128
	s_wait_loadcnt_dscnt 0x1
	v_mul_f64_e32 v[17:18], v[12:13], v[186:187]
	v_mul_f64_e32 v[19:20], v[10:11], v[186:187]
	s_delay_alu instid0(VALU_DEP_2) | instskip(NEXT) | instid1(VALU_DEP_2)
	v_fma_f64 v[10:11], v[10:11], v[184:185], -v[17:18]
	v_fma_f64 v[12:13], v[12:13], v[184:185], v[19:20]
	s_clause 0x1
	global_load_b128 v[184:187], v[0:1], off offset:2128
	global_load_b128 v[200:203], v[0:1], off offset:2368
	s_wait_loadcnt_dscnt 0x100
	v_mul_f64_e32 v[17:18], v[198:199], v[186:187]
	v_mul_f64_e32 v[19:20], v[196:197], v[186:187]
	s_delay_alu instid0(VALU_DEP_2) | instskip(NEXT) | instid1(VALU_DEP_2)
	v_fma_f64 v[196:197], v[196:197], v[184:185], -v[17:18]
	v_fma_f64 v[198:199], v[198:199], v[184:185], v[19:20]
	ds_load_b128 v[184:187], v255 offset:2368
	ds_load_b128 v[204:207], v255 offset:2608
	s_wait_loadcnt_dscnt 0x1
	v_mul_f64_e32 v[17:18], v[186:187], v[202:203]
	v_mul_f64_e32 v[19:20], v[184:185], v[202:203]
	s_delay_alu instid0(VALU_DEP_2) | instskip(NEXT) | instid1(VALU_DEP_2)
	v_fma_f64 v[184:185], v[184:185], v[200:201], -v[17:18]
	v_fma_f64 v[186:187], v[186:187], v[200:201], v[19:20]
	s_clause 0x1
	global_load_b128 v[200:203], v[0:1], off offset:2608
	global_load_b128 v[208:211], v[0:1], off offset:2848
	ds_load_b128 v[212:215], v255 offset:2848
	ds_load_b128 v[216:219], v255 offset:3088
	s_wait_loadcnt_dscnt 0x102
	v_mul_f64_e32 v[17:18], v[206:207], v[202:203]
	v_mul_f64_e32 v[19:20], v[204:205], v[202:203]
	s_delay_alu instid0(VALU_DEP_2) | instskip(SKIP_2) | instid1(VALU_DEP_3)
	v_fma_f64 v[202:203], v[204:205], v[200:201], -v[17:18]
	s_wait_loadcnt_dscnt 0x1
	v_mul_f64_e32 v[17:18], v[214:215], v[210:211]
	v_fma_f64 v[204:205], v[206:207], v[200:201], v[19:20]
	v_mul_f64_e32 v[19:20], v[212:213], v[210:211]
	s_delay_alu instid0(VALU_DEP_3)
	v_fma_f64 v[206:207], v[212:213], v[208:209], -v[17:18]
	global_load_b128 v[210:213], v[0:1], off offset:3088
	v_fma_f64 v[208:209], v[214:215], v[208:209], v[19:20]
	s_wait_loadcnt_dscnt 0x0
	v_mul_f64_e32 v[0:1], v[218:219], v[212:213]
	v_mul_f64_e32 v[17:18], v[216:217], v[212:213]
	s_delay_alu instid0(VALU_DEP_2) | instskip(NEXT) | instid1(VALU_DEP_2)
	v_fma_f64 v[212:213], v[216:217], v[210:211], -v[0:1]
	v_fma_f64 v[214:215], v[218:219], v[210:211], v[17:18]
	ds_store_b128 v255, v[2:5] offset:448
	ds_store_b128 v255, v[188:191] offset:688
	;; [unrolled: 1-line block ×12, first 2 shown]
.LBB0_9:
	s_wait_alu 0xfffe
	s_or_b32 exec_lo, exec_lo, s2
	global_wb scope:SCOPE_SE
	s_wait_dscnt 0x0
	s_barrier_signal -1
	s_barrier_wait -1
	global_inv scope:SCOPE_SE
	ds_load_b128 v[176:179], v255
	ds_load_b128 v[180:183], v255 offset:240
	ds_load_b128 v[184:187], v255 offset:480
	;; [unrolled: 1-line block ×12, first 2 shown]
	s_and_saveexec_b32 s0, vcc_lo
	s_cbranch_execz .LBB0_11
; %bb.10:
	ds_load_b128 v[168:171], v14 offset:208
	ds_load_b128 v[172:175], v14 offset:448
	;; [unrolled: 1-line block ×3, first 2 shown]
	s_wait_dscnt 0x0
	scratch_store_b128 off, v[0:3], off     ; 16-byte Folded Spill
	ds_load_b128 v[76:79], v14 offset:928
	ds_load_b128 v[88:91], v14 offset:1168
	;; [unrolled: 1-line block ×9, first 2 shown]
	s_wait_dscnt 0x0
	scratch_store_b128 off, v[0:3], off offset:32 ; 16-byte Folded Spill
	ds_load_b128 v[0:3], v14 offset:3088
	s_wait_dscnt 0x0
	scratch_store_b128 off, v[0:3], off offset:16 ; 16-byte Folded Spill
.LBB0_11:
	s_wait_alu 0xfffe
	s_or_b32 exec_lo, exec_lo, s0
	s_wait_dscnt 0xb
	v_add_f64_e32 v[0:1], v[176:177], v[180:181]
	v_add_f64_e32 v[2:3], v[178:179], v[182:183]
	s_wait_dscnt 0x0
	v_add_f64_e64 v[4:5], v[182:183], -v[190:191]
	s_mov_b32 s42, 0x4267c47c
	s_mov_b32 s24, 0x42a4c3d2
	;; [unrolled: 1-line block ×12, first 2 shown]
	v_add_f64_e32 v[6:7], v[180:181], v[188:189]
	v_add_f64_e32 v[8:9], v[182:183], v[190:191]
	v_add_f64_e64 v[10:11], v[180:181], -v[188:189]
	s_mov_b32 s26, 0xe00740e9
	s_mov_b32 s16, 0x1ea71119
	;; [unrolled: 1-line block ×13, first 2 shown]
	s_wait_alu 0xfffe
	s_mov_b32 s38, s24
	v_add_f64_e64 v[249:250], v[186:187], -v[198:199]
	s_mov_b32 s31, 0x3fefc445
	s_mov_b32 s37, 0x3fedeba7
	;; [unrolled: 1-line block ×4, first 2 shown]
	v_add_f64_e32 v[239:240], v[194:195], v[202:203]
	v_add_f64_e32 v[0:1], v[0:1], v[184:185]
	;; [unrolled: 1-line block ×3, first 2 shown]
	v_mul_f64_e32 v[12:13], s[22:23], v[4:5]
	v_mul_f64_e32 v[17:18], s[20:21], v[4:5]
	;; [unrolled: 1-line block ×3, first 2 shown]
	v_add_f64_e64 v[241:242], v[194:195], -v[202:203]
	v_add_f64_e32 v[243:244], v[186:187], v[198:199]
	s_mov_b32 s29, 0x3fddbe06
	s_mov_b32 s35, 0x3fe5384d
	;; [unrolled: 1-line block ×4, first 2 shown]
	v_add_f64_e32 v[233:234], v[226:227], v[222:223]
	v_add_f64_e32 v[231:232], v[224:225], v[220:221]
	s_mov_b32 s41, 0x3fcea1e5
	s_mov_b32 s40, s12
	global_wb scope:SCOPE_SE
	s_wait_storecnt 0x0
	v_mul_f64_e32 v[35:36], s[14:15], v[8:9]
	v_mul_f64_e32 v[37:38], s[8:9], v[8:9]
	;; [unrolled: 1-line block ×3, first 2 shown]
	s_barrier_signal -1
	s_barrier_wait -1
	global_inv scope:SCOPE_SE
	v_add_f64_e32 v[0:1], v[0:1], v[192:193]
	v_add_f64_e32 v[2:3], v[2:3], v[194:195]
	v_fma_f64 v[25:26], v[6:7], s[14:15], v[12:13]
	v_fma_f64 v[12:13], v[6:7], s[14:15], -v[12:13]
	v_fma_f64 v[27:28], v[6:7], s[8:9], v[17:18]
	v_fma_f64 v[17:18], v[6:7], s[8:9], -v[17:18]
	;; [unrolled: 2-line block ×3, first 2 shown]
	v_add_f64_e32 v[194:195], v[184:185], v[196:197]
	v_add_f64_e64 v[184:185], v[184:185], -v[196:197]
	v_add_f64_e32 v[0:1], v[0:1], v[204:205]
	v_add_f64_e32 v[2:3], v[2:3], v[206:207]
	;; [unrolled: 1-line block ×6, first 2 shown]
	v_mul_f64_e32 v[27:28], s[12:13], v[241:242]
	v_add_f64_e32 v[0:1], v[0:1], v[212:213]
	v_add_f64_e32 v[2:3], v[2:3], v[214:215]
	s_delay_alu instid0(VALU_DEP_2) | instskip(NEXT) | instid1(VALU_DEP_2)
	v_add_f64_e32 v[235:236], v[0:1], v[224:225]
	v_add_f64_e32 v[237:238], v[2:3], v[226:227]
	v_add_f64_e64 v[226:227], v[226:227], -v[222:223]
	v_add_f64_e64 v[224:225], v[224:225], -v[220:221]
	s_delay_alu instid0(VALU_DEP_4) | instskip(NEXT) | instid1(VALU_DEP_4)
	v_add_f64_e32 v[0:1], v[235:236], v[220:221]
	v_add_f64_e32 v[2:3], v[237:238], v[222:223]
	;; [unrolled: 1-line block ×3, first 2 shown]
	v_add_f64_e64 v[235:236], v[214:215], -v[218:219]
	v_add_f64_e64 v[237:238], v[206:207], -v[210:211]
	v_add_f64_e32 v[220:221], v[212:213], v[216:217]
	v_add_f64_e64 v[212:213], v[212:213], -v[216:217]
	v_add_f64_e32 v[214:215], v[204:205], v[208:209]
	v_add_f64_e64 v[204:205], v[204:205], -v[208:209]
	v_mul_f64_e32 v[251:252], s[12:13], v[226:227]
	v_add_f64_e32 v[0:1], v[0:1], v[216:217]
	v_add_f64_e32 v[2:3], v[2:3], v[218:219]
	;; [unrolled: 1-line block ×4, first 2 shown]
	v_add_f64_e64 v[192:193], v[192:193], -v[200:201]
	v_add_f64_e32 v[0:1], v[0:1], v[208:209]
	v_add_f64_e32 v[2:3], v[2:3], v[210:211]
	s_delay_alu instid0(VALU_DEP_2) | instskip(NEXT) | instid1(VALU_DEP_2)
	v_add_f64_e32 v[0:1], v[0:1], v[200:201]
	v_add_f64_e32 v[2:3], v[2:3], v[202:203]
	s_wait_alu 0xfffe
	v_fma_f64 v[200:201], v[10:11], s[34:35], v[186:187]
	v_fma_f64 v[202:203], v[10:11], s[18:19], v[186:187]
	s_delay_alu instid0(VALU_DEP_4) | instskip(NEXT) | instid1(VALU_DEP_4)
	v_add_f64_e32 v[0:1], v[0:1], v[196:197]
	v_add_f64_e32 v[2:3], v[2:3], v[198:199]
	v_fma_f64 v[196:197], v[10:11], s[30:31], v[35:36]
	v_fma_f64 v[198:199], v[10:11], s[36:37], v[37:38]
	v_fma_f64 v[37:38], v[10:11], s[20:21], v[37:38]
	v_fma_f64 v[35:36], v[10:11], s[22:23], v[35:36]
	v_add_f64_e32 v[180:181], v[0:1], v[188:189]
	v_add_f64_e32 v[182:183], v[2:3], v[190:191]
	v_mul_f64_e32 v[0:1], s[42:43], v[4:5]
	v_mul_f64_e32 v[2:3], s[24:25], v[4:5]
	;; [unrolled: 1-line block ×3, first 2 shown]
	v_add_f64_e32 v[45:46], v[178:179], v[196:197]
	v_add_f64_e32 v[51:52], v[178:179], v[198:199]
	v_mul_f64_e32 v[196:197], s[16:17], v[243:244]
	v_mul_f64_e32 v[198:199], s[22:23], v[241:242]
	v_add_f64_e32 v[35:36], v[178:179], v[35:36]
	v_fma_f64 v[21:22], v[6:7], s[26:27], v[0:1]
	v_fma_f64 v[0:1], v[6:7], s[26:27], -v[0:1]
	v_fma_f64 v[23:24], v[6:7], s[16:17], v[2:3]
	v_fma_f64 v[2:3], v[6:7], s[16:17], -v[2:3]
	;; [unrolled: 2-line block ×3, first 2 shown]
	v_mul_f64_e32 v[6:7], s[16:17], v[8:9]
	v_mul_f64_e32 v[4:5], s[26:27], v[8:9]
	;; [unrolled: 1-line block ×3, first 2 shown]
	v_add_f64_e32 v[21:22], v[176:177], v[21:22]
	v_add_f64_e32 v[186:187], v[176:177], v[0:1]
	;; [unrolled: 1-line block ×5, first 2 shown]
	v_mul_f64_e32 v[202:203], s[20:21], v[237:238]
	v_fma_f64 v[190:191], v[10:11], s[38:39], v[6:7]
	v_fma_f64 v[188:189], v[10:11], s[28:29], v[4:5]
	;; [unrolled: 1-line block ×6, first 2 shown]
	v_add_f64_e32 v[10:11], v[178:179], v[37:38]
	v_mul_f64_e32 v[37:38], s[0:1], v[233:234]
	v_add_f64_e32 v[8:9], v[176:177], v[29:30]
	v_add_f64_e32 v[0:1], v[176:177], v[31:32]
	;; [unrolled: 1-line block ×3, first 2 shown]
	v_fma_f64 v[29:30], v[206:207], s[0:1], v[27:28]
	v_fma_f64 v[27:28], v[206:207], s[0:1], -v[27:28]
	v_add_f64_e32 v[39:40], v[178:179], v[190:191]
	v_mul_f64_e32 v[190:191], s[24:25], v[249:250]
	v_add_f64_e32 v[216:217], v[178:179], v[188:189]
	v_add_f64_e32 v[188:189], v[178:179], v[4:5]
	;; [unrolled: 1-line block ×5, first 2 shown]
	v_fma_f64 v[19:20], v[184:185], s[38:39], v[196:197]
	v_mul_f64_e32 v[200:201], s[14:15], v[239:240]
	v_add_f64_e32 v[253:254], v[178:179], v[208:209]
	v_mul_f64_e32 v[208:209], s[8:9], v[218:219]
	v_add_f64_e32 v[245:246], v[178:179], v[210:211]
	v_mul_f64_e32 v[210:211], s[18:19], v[235:236]
	v_fma_f64 v[17:18], v[194:195], s[16:17], v[190:191]
	v_add_f64_e32 v[19:20], v[19:20], v[216:217]
	v_mul_f64_e32 v[216:217], s[2:3], v[222:223]
	s_delay_alu instid0(VALU_DEP_3) | instskip(SKIP_1) | instid1(VALU_DEP_1)
	v_add_f64_e32 v[17:18], v[17:18], v[21:22]
	v_fma_f64 v[21:22], v[206:207], s[14:15], v[198:199]
	v_add_f64_e32 v[17:18], v[21:22], v[17:18]
	v_fma_f64 v[21:22], v[192:193], s[30:31], v[200:201]
	s_delay_alu instid0(VALU_DEP_1) | instskip(SKIP_1) | instid1(VALU_DEP_1)
	v_add_f64_e32 v[19:20], v[21:22], v[19:20]
	v_fma_f64 v[21:22], v[214:215], s[8:9], v[202:203]
	v_add_f64_e32 v[17:18], v[21:22], v[17:18]
	v_fma_f64 v[21:22], v[204:205], s[36:37], v[208:209]
	s_delay_alu instid0(VALU_DEP_1) | instskip(SKIP_1) | instid1(VALU_DEP_1)
	;; [unrolled: 5-line block ×3, first 2 shown]
	v_add_f64_e32 v[19:20], v[21:22], v[19:20]
	v_fma_f64 v[21:22], v[231:232], s[0:1], v[251:252]
	v_add_f64_e32 v[176:177], v[21:22], v[17:18]
	v_fma_f64 v[17:18], v[224:225], s[40:41], v[37:38]
	v_mul_f64_e32 v[21:22], s[20:21], v[249:250]
	v_fma_f64 v[37:38], v[224:225], s[12:13], v[37:38]
	s_delay_alu instid0(VALU_DEP_3) | instskip(NEXT) | instid1(VALU_DEP_3)
	v_add_f64_e32 v[178:179], v[17:18], v[19:20]
	v_fma_f64 v[17:18], v[194:195], s[8:9], v[21:22]
	v_fma_f64 v[21:22], v[194:195], s[8:9], -v[21:22]
	s_delay_alu instid0(VALU_DEP_2) | instskip(SKIP_1) | instid1(VALU_DEP_3)
	v_add_f64_e32 v[17:18], v[17:18], v[23:24]
	v_mul_f64_e32 v[23:24], s[8:9], v[243:244]
	v_add_f64_e32 v[21:22], v[21:22], v[41:42]
	s_delay_alu instid0(VALU_DEP_3) | instskip(NEXT) | instid1(VALU_DEP_3)
	v_add_f64_e32 v[17:18], v[29:30], v[17:18]
	v_fma_f64 v[19:20], v[184:185], s[36:37], v[23:24]
	v_mul_f64_e32 v[29:30], s[0:1], v[239:240]
	v_fma_f64 v[23:24], v[184:185], s[20:21], v[23:24]
	v_add_f64_e32 v[21:22], v[27:28], v[21:22]
	s_delay_alu instid0(VALU_DEP_4) | instskip(NEXT) | instid1(VALU_DEP_4)
	v_add_f64_e32 v[19:20], v[19:20], v[39:40]
	v_fma_f64 v[31:32], v[192:193], s[40:41], v[29:30]
	s_delay_alu instid0(VALU_DEP_4) | instskip(SKIP_1) | instid1(VALU_DEP_3)
	v_add_f64_e32 v[23:24], v[23:24], v[43:44]
	v_fma_f64 v[27:28], v[192:193], s[12:13], v[29:30]
	v_add_f64_e32 v[19:20], v[31:32], v[19:20]
	v_mul_f64_e32 v[31:32], s[34:35], v[237:238]
	s_delay_alu instid0(VALU_DEP_3) | instskip(NEXT) | instid1(VALU_DEP_2)
	v_add_f64_e32 v[23:24], v[27:28], v[23:24]
	v_fma_f64 v[33:34], v[214:215], s[2:3], v[31:32]
	v_fma_f64 v[27:28], v[214:215], s[2:3], -v[31:32]
	v_mul_f64_e32 v[31:32], s[0:1], v[243:244]
	s_delay_alu instid0(VALU_DEP_3) | instskip(SKIP_1) | instid1(VALU_DEP_4)
	v_add_f64_e32 v[17:18], v[33:34], v[17:18]
	v_mul_f64_e32 v[33:34], s[2:3], v[218:219]
	v_add_f64_e32 v[21:22], v[27:28], v[21:22]
	s_delay_alu instid0(VALU_DEP_2) | instskip(SKIP_2) | instid1(VALU_DEP_3)
	v_fma_f64 v[39:40], v[204:205], s[18:19], v[33:34]
	v_fma_f64 v[27:28], v[204:205], s[34:35], v[33:34]
	v_mul_f64_e32 v[33:34], s[36:37], v[241:242]
	v_add_f64_e32 v[19:20], v[39:40], v[19:20]
	v_mul_f64_e32 v[39:40], s[30:31], v[235:236]
	s_delay_alu instid0(VALU_DEP_4) | instskip(NEXT) | instid1(VALU_DEP_2)
	v_add_f64_e32 v[23:24], v[27:28], v[23:24]
	v_fma_f64 v[53:54], v[220:221], s[14:15], v[39:40]
	v_fma_f64 v[27:28], v[220:221], s[14:15], -v[39:40]
	v_fma_f64 v[39:40], v[206:207], s[8:9], v[33:34]
	v_fma_f64 v[33:34], v[206:207], s[8:9], -v[33:34]
	s_delay_alu instid0(VALU_DEP_4) | instskip(SKIP_2) | instid1(VALU_DEP_2)
	v_add_f64_e32 v[17:18], v[53:54], v[17:18]
	v_mul_f64_e32 v[53:54], s[14:15], v[222:223]
	v_add_f64_e32 v[21:22], v[27:28], v[21:22]
	v_fma_f64 v[55:56], v[212:213], s[22:23], v[53:54]
	v_fma_f64 v[27:28], v[212:213], s[30:31], v[53:54]
	s_delay_alu instid0(VALU_DEP_2) | instskip(SKIP_1) | instid1(VALU_DEP_3)
	v_add_f64_e32 v[19:20], v[55:56], v[19:20]
	v_mul_f64_e32 v[55:56], s[28:29], v[226:227]
	v_add_f64_e32 v[23:24], v[27:28], v[23:24]
	s_delay_alu instid0(VALU_DEP_2) | instskip(SKIP_1) | instid1(VALU_DEP_2)
	v_fma_f64 v[57:58], v[231:232], s[26:27], v[55:56]
	v_fma_f64 v[27:28], v[231:232], s[26:27], -v[55:56]
	v_add_f64_e32 v[17:18], v[57:58], v[17:18]
	v_mul_f64_e32 v[57:58], s[26:27], v[233:234]
	s_delay_alu instid0(VALU_DEP_3) | instskip(NEXT) | instid1(VALU_DEP_2)
	v_add_f64_e32 v[21:22], v[27:28], v[21:22]
	v_fma_f64 v[29:30], v[224:225], s[28:29], v[57:58]
	v_fma_f64 v[72:73], v[224:225], s[42:43], v[57:58]
	s_delay_alu instid0(VALU_DEP_2) | instskip(SKIP_1) | instid1(VALU_DEP_3)
	v_add_f64_e32 v[23:24], v[29:30], v[23:24]
	v_mul_f64_e32 v[29:30], s[12:13], v[249:250]
	v_add_f64_e32 v[19:20], v[72:73], v[19:20]
	s_delay_alu instid0(VALU_DEP_2) | instskip(SKIP_1) | instid1(VALU_DEP_2)
	v_fma_f64 v[27:28], v[194:195], s[0:1], v[29:30]
	v_fma_f64 v[29:30], v[194:195], s[0:1], -v[29:30]
	v_add_f64_e32 v[25:26], v[27:28], v[25:26]
	v_fma_f64 v[27:28], v[184:185], s[40:41], v[31:32]
	s_delay_alu instid0(VALU_DEP_3) | instskip(SKIP_1) | instid1(VALU_DEP_4)
	v_add_f64_e32 v[29:30], v[29:30], v[47:48]
	v_fma_f64 v[31:32], v[184:185], s[12:13], v[31:32]
	v_add_f64_e32 v[25:26], v[39:40], v[25:26]
	v_mul_f64_e32 v[39:40], s[8:9], v[239:240]
	v_add_f64_e32 v[27:28], v[27:28], v[45:46]
	s_delay_alu instid0(VALU_DEP_4) | instskip(SKIP_1) | instid1(VALU_DEP_4)
	v_add_f64_e32 v[31:32], v[31:32], v[35:36]
	v_add_f64_e32 v[29:30], v[33:34], v[29:30]
	v_fma_f64 v[41:42], v[192:193], s[20:21], v[39:40]
	v_fma_f64 v[33:34], v[192:193], s[36:37], v[39:40]
	v_mul_f64_e32 v[39:40], s[34:35], v[249:250]
	s_delay_alu instid0(VALU_DEP_3) | instskip(SKIP_1) | instid1(VALU_DEP_4)
	v_add_f64_e32 v[27:28], v[41:42], v[27:28]
	v_mul_f64_e32 v[41:42], s[28:29], v[237:238]
	v_add_f64_e32 v[31:32], v[33:34], v[31:32]
	s_delay_alu instid0(VALU_DEP_2) | instskip(SKIP_2) | instid1(VALU_DEP_3)
	v_fma_f64 v[43:44], v[214:215], s[26:27], v[41:42]
	v_fma_f64 v[33:34], v[214:215], s[26:27], -v[41:42]
	v_mul_f64_e32 v[41:42], s[2:3], v[243:244]
	v_add_f64_e32 v[25:26], v[43:44], v[25:26]
	v_mul_f64_e32 v[43:44], s[26:27], v[218:219]
	s_delay_alu instid0(VALU_DEP_4) | instskip(NEXT) | instid1(VALU_DEP_2)
	v_add_f64_e32 v[29:30], v[33:34], v[29:30]
	v_fma_f64 v[45:46], v[204:205], s[42:43], v[43:44]
	v_fma_f64 v[33:34], v[204:205], s[28:29], v[43:44]
	v_mul_f64_e32 v[43:44], s[28:29], v[241:242]
	s_delay_alu instid0(VALU_DEP_3) | instskip(SKIP_1) | instid1(VALU_DEP_4)
	v_add_f64_e32 v[27:28], v[45:46], v[27:28]
	v_mul_f64_e32 v[45:46], s[24:25], v[235:236]
	v_add_f64_e32 v[31:32], v[33:34], v[31:32]
	s_delay_alu instid0(VALU_DEP_2) | instskip(SKIP_2) | instid1(VALU_DEP_3)
	v_fma_f64 v[53:54], v[220:221], s[16:17], v[45:46]
	v_fma_f64 v[33:34], v[220:221], s[16:17], -v[45:46]
	v_fma_f64 v[45:46], v[206:207], s[26:27], v[43:44]
	v_add_f64_e32 v[25:26], v[53:54], v[25:26]
	v_mul_f64_e32 v[53:54], s[16:17], v[222:223]
	s_delay_alu instid0(VALU_DEP_4) | instskip(NEXT) | instid1(VALU_DEP_2)
	v_add_f64_e32 v[29:30], v[33:34], v[29:30]
	v_fma_f64 v[55:56], v[212:213], s[38:39], v[53:54]
	v_fma_f64 v[33:34], v[212:213], s[24:25], v[53:54]
	s_delay_alu instid0(VALU_DEP_2) | instskip(SKIP_1) | instid1(VALU_DEP_3)
	v_add_f64_e32 v[27:28], v[55:56], v[27:28]
	v_mul_f64_e32 v[55:56], s[18:19], v[226:227]
	v_add_f64_e32 v[31:32], v[33:34], v[31:32]
	s_delay_alu instid0(VALU_DEP_2) | instskip(SKIP_1) | instid1(VALU_DEP_2)
	v_fma_f64 v[57:58], v[231:232], s[2:3], v[55:56]
	v_fma_f64 v[33:34], v[231:232], s[2:3], -v[55:56]
	v_add_f64_e32 v[25:26], v[57:58], v[25:26]
	v_mul_f64_e32 v[57:58], s[2:3], v[233:234]
	s_delay_alu instid0(VALU_DEP_3) | instskip(SKIP_2) | instid1(VALU_DEP_4)
	v_add_f64_e32 v[29:30], v[33:34], v[29:30]
	v_fma_f64 v[33:34], v[194:195], s[2:3], v[39:40]
	v_fma_f64 v[39:40], v[194:195], s[2:3], -v[39:40]
	v_fma_f64 v[35:36], v[224:225], s[18:19], v[57:58]
	v_fma_f64 v[72:73], v[224:225], s[34:35], v[57:58]
	s_delay_alu instid0(VALU_DEP_4) | instskip(NEXT) | instid1(VALU_DEP_4)
	v_add_f64_e32 v[33:34], v[33:34], v[49:50]
	v_add_f64_e32 v[12:13], v[39:40], v[12:13]
	v_fma_f64 v[39:40], v[184:185], s[34:35], v[41:42]
	v_add_f64_e32 v[31:32], v[35:36], v[31:32]
	v_fma_f64 v[35:36], v[184:185], s[18:19], v[41:42]
	v_add_f64_e32 v[33:34], v[45:46], v[33:34]
	v_mul_f64_e32 v[45:46], s[26:27], v[239:240]
	v_add_f64_e32 v[10:11], v[39:40], v[10:11]
	v_fma_f64 v[39:40], v[206:207], s[26:27], -v[43:44]
	v_add_f64_e32 v[27:28], v[72:73], v[27:28]
	v_add_f64_e32 v[35:36], v[35:36], v[51:52]
	v_fma_f64 v[47:48], v[192:193], s[42:43], v[45:46]
	s_delay_alu instid0(VALU_DEP_4) | instskip(SKIP_1) | instid1(VALU_DEP_3)
	v_add_f64_e32 v[12:13], v[39:40], v[12:13]
	v_fma_f64 v[39:40], v[192:193], s[28:29], v[45:46]
	v_add_f64_e32 v[35:36], v[47:48], v[35:36]
	v_mul_f64_e32 v[47:48], s[22:23], v[237:238]
	s_delay_alu instid0(VALU_DEP_3) | instskip(NEXT) | instid1(VALU_DEP_2)
	v_add_f64_e32 v[10:11], v[39:40], v[10:11]
	v_fma_f64 v[49:50], v[214:215], s[14:15], v[47:48]
	v_fma_f64 v[39:40], v[214:215], s[14:15], -v[47:48]
	s_delay_alu instid0(VALU_DEP_2) | instskip(SKIP_1) | instid1(VALU_DEP_3)
	v_add_f64_e32 v[33:34], v[49:50], v[33:34]
	v_mul_f64_e32 v[49:50], s[14:15], v[218:219]
	v_add_f64_e32 v[12:13], v[39:40], v[12:13]
	s_delay_alu instid0(VALU_DEP_2) | instskip(SKIP_1) | instid1(VALU_DEP_2)
	v_fma_f64 v[51:52], v[204:205], s[30:31], v[49:50]
	v_fma_f64 v[39:40], v[204:205], s[22:23], v[49:50]
	v_add_f64_e32 v[35:36], v[51:52], v[35:36]
	v_mul_f64_e32 v[51:52], s[40:41], v[235:236]
	s_delay_alu instid0(VALU_DEP_3) | instskip(NEXT) | instid1(VALU_DEP_2)
	v_add_f64_e32 v[10:11], v[39:40], v[10:11]
	v_fma_f64 v[53:54], v[220:221], s[0:1], v[51:52]
	v_fma_f64 v[39:40], v[220:221], s[0:1], -v[51:52]
	s_delay_alu instid0(VALU_DEP_2) | instskip(SKIP_1) | instid1(VALU_DEP_3)
	v_add_f64_e32 v[33:34], v[53:54], v[33:34]
	v_mul_f64_e32 v[53:54], s[0:1], v[222:223]
	v_add_f64_e32 v[12:13], v[39:40], v[12:13]
	s_delay_alu instid0(VALU_DEP_2) | instskip(SKIP_1) | instid1(VALU_DEP_2)
	v_fma_f64 v[55:56], v[212:213], s[12:13], v[53:54]
	v_fma_f64 v[39:40], v[212:213], s[40:41], v[53:54]
	v_add_f64_e32 v[35:36], v[55:56], v[35:36]
	v_mul_f64_e32 v[55:56], s[38:39], v[226:227]
	s_delay_alu instid0(VALU_DEP_3) | instskip(NEXT) | instid1(VALU_DEP_2)
	v_add_f64_e32 v[39:40], v[39:40], v[10:11]
	v_fma_f64 v[57:58], v[231:232], s[16:17], v[55:56]
	v_fma_f64 v[10:11], v[231:232], s[16:17], -v[55:56]
	s_delay_alu instid0(VALU_DEP_2) | instskip(SKIP_1) | instid1(VALU_DEP_3)
	v_add_f64_e32 v[33:34], v[57:58], v[33:34]
	v_mul_f64_e32 v[57:58], s[16:17], v[233:234]
	v_add_f64_e32 v[10:11], v[10:11], v[12:13]
	s_delay_alu instid0(VALU_DEP_2) | instskip(SKIP_2) | instid1(VALU_DEP_3)
	v_fma_f64 v[41:42], v[224:225], s[38:39], v[57:58]
	v_fma_f64 v[72:73], v[224:225], s[24:25], v[57:58]
	v_mul_f64_e32 v[57:58], s[20:21], v[226:227]
	v_add_f64_e32 v[12:13], v[41:42], v[39:40]
	v_mul_f64_e32 v[39:40], s[30:31], v[249:250]
	s_delay_alu instid0(VALU_DEP_4)
	v_add_f64_e32 v[35:36], v[72:73], v[35:36]
	v_mul_f64_e32 v[72:73], s[8:9], v[233:234]
	ds_store_b128 v16, v[17:20] offset:32
	ds_store_b128 v16, v[25:28] offset:48
	;; [unrolled: 1-line block ×3, first 2 shown]
	v_fma_f64 v[41:42], v[194:195], s[14:15], v[39:40]
	v_fma_f64 v[39:40], v[194:195], s[14:15], -v[39:40]
	v_add_nc_u32_e32 v17, 0x340, v255
	s_delay_alu instid0(VALU_DEP_3) | instskip(SKIP_1) | instid1(VALU_DEP_4)
	v_add_f64_e32 v[8:9], v[41:42], v[8:9]
	v_mul_f64_e32 v[41:42], s[14:15], v[243:244]
	v_add_f64_e32 v[4:5], v[39:40], v[4:5]
	s_delay_alu instid0(VALU_DEP_2) | instskip(SKIP_2) | instid1(VALU_DEP_3)
	v_fma_f64 v[43:44], v[184:185], s[22:23], v[41:42]
	v_fma_f64 v[39:40], v[184:185], s[30:31], v[41:42]
	;; [unrolled: 1-line block ×3, first 2 shown]
	v_add_f64_e32 v[6:7], v[43:44], v[6:7]
	v_mul_f64_e32 v[43:44], s[24:25], v[241:242]
	s_delay_alu instid0(VALU_DEP_4) | instskip(NEXT) | instid1(VALU_DEP_2)
	v_add_f64_e32 v[2:3], v[39:40], v[2:3]
	v_fma_f64 v[45:46], v[206:207], s[16:17], v[43:44]
	v_fma_f64 v[39:40], v[206:207], s[16:17], -v[43:44]
	s_delay_alu instid0(VALU_DEP_2) | instskip(SKIP_1) | instid1(VALU_DEP_3)
	v_add_f64_e32 v[8:9], v[45:46], v[8:9]
	v_mul_f64_e32 v[45:46], s[16:17], v[239:240]
	v_add_f64_e32 v[4:5], v[39:40], v[4:5]
	s_delay_alu instid0(VALU_DEP_2) | instskip(SKIP_2) | instid1(VALU_DEP_3)
	v_fma_f64 v[47:48], v[192:193], s[38:39], v[45:46]
	v_fma_f64 v[39:40], v[192:193], s[24:25], v[45:46]
	v_mul_f64_e32 v[45:46], s[18:19], v[241:242]
	v_add_f64_e32 v[6:7], v[47:48], v[6:7]
	v_mul_f64_e32 v[47:48], s[40:41], v[237:238]
	s_delay_alu instid0(VALU_DEP_4) | instskip(NEXT) | instid1(VALU_DEP_2)
	v_add_f64_e32 v[2:3], v[39:40], v[2:3]
	v_fma_f64 v[49:50], v[214:215], s[0:1], v[47:48]
	v_fma_f64 v[39:40], v[214:215], s[0:1], -v[47:48]
	v_fma_f64 v[47:48], v[206:207], s[2:3], v[45:46]
	s_delay_alu instid0(VALU_DEP_3) | instskip(SKIP_1) | instid1(VALU_DEP_4)
	v_add_f64_e32 v[8:9], v[49:50], v[8:9]
	v_mul_f64_e32 v[49:50], s[0:1], v[218:219]
	v_add_f64_e32 v[4:5], v[39:40], v[4:5]
	s_delay_alu instid0(VALU_DEP_2) | instskip(SKIP_1) | instid1(VALU_DEP_2)
	v_fma_f64 v[51:52], v[204:205], s[12:13], v[49:50]
	v_fma_f64 v[39:40], v[204:205], s[40:41], v[49:50]
	v_add_f64_e32 v[6:7], v[51:52], v[6:7]
	v_mul_f64_e32 v[51:52], s[28:29], v[235:236]
	s_delay_alu instid0(VALU_DEP_3) | instskip(NEXT) | instid1(VALU_DEP_2)
	v_add_f64_e32 v[2:3], v[39:40], v[2:3]
	v_fma_f64 v[53:54], v[220:221], s[26:27], v[51:52]
	v_fma_f64 v[39:40], v[220:221], s[26:27], -v[51:52]
	s_delay_alu instid0(VALU_DEP_2) | instskip(SKIP_1) | instid1(VALU_DEP_3)
	v_add_f64_e32 v[8:9], v[53:54], v[8:9]
	v_mul_f64_e32 v[53:54], s[26:27], v[222:223]
	v_add_f64_e32 v[4:5], v[39:40], v[4:5]
	s_delay_alu instid0(VALU_DEP_2) | instskip(SKIP_1) | instid1(VALU_DEP_2)
	v_fma_f64 v[39:40], v[212:213], s[28:29], v[53:54]
	v_fma_f64 v[55:56], v[212:213], s[42:43], v[53:54]
	v_add_f64_e32 v[39:40], v[39:40], v[2:3]
	v_fma_f64 v[2:3], v[231:232], s[8:9], -v[57:58]
	s_delay_alu instid0(VALU_DEP_3) | instskip(SKIP_1) | instid1(VALU_DEP_3)
	v_add_f64_e32 v[55:56], v[55:56], v[6:7]
	v_fma_f64 v[6:7], v[231:232], s[8:9], v[57:58]
	v_add_f64_e32 v[2:3], v[2:3], v[4:5]
	v_add_f64_e32 v[4:5], v[41:42], v[39:40]
	v_mul_f64_e32 v[39:40], s[28:29], v[249:250]
	s_delay_alu instid0(VALU_DEP_4) | instskip(SKIP_2) | instid1(VALU_DEP_4)
	v_add_f64_e32 v[6:7], v[6:7], v[8:9]
	v_fma_f64 v[8:9], v[224:225], s[36:37], v[72:73]
	v_mul_f64_e32 v[72:73], s[14:15], v[233:234]
	v_fma_f64 v[41:42], v[194:195], s[26:27], v[39:40]
	s_delay_alu instid0(VALU_DEP_3) | instskip(NEXT) | instid1(VALU_DEP_2)
	v_add_f64_e32 v[8:9], v[8:9], v[55:56]
	v_add_f64_e32 v[0:1], v[41:42], v[0:1]
	v_mul_f64_e32 v[41:42], s[26:27], v[243:244]
	s_delay_alu instid0(VALU_DEP_2) | instskip(NEXT) | instid1(VALU_DEP_2)
	v_add_f64_e32 v[0:1], v[47:48], v[0:1]
	v_fma_f64 v[43:44], v[184:185], s[42:43], v[41:42]
	v_mul_f64_e32 v[47:48], s[2:3], v[239:240]
	s_delay_alu instid0(VALU_DEP_2) | instskip(NEXT) | instid1(VALU_DEP_2)
	v_add_f64_e32 v[43:44], v[43:44], v[253:254]
	v_fma_f64 v[49:50], v[192:193], s[34:35], v[47:48]
	s_delay_alu instid0(VALU_DEP_1) | instskip(SKIP_1) | instid1(VALU_DEP_1)
	v_add_f64_e32 v[43:44], v[49:50], v[43:44]
	v_mul_f64_e32 v[49:50], s[38:39], v[237:238]
	v_fma_f64 v[51:52], v[214:215], s[16:17], v[49:50]
	s_delay_alu instid0(VALU_DEP_1) | instskip(SKIP_1) | instid1(VALU_DEP_1)
	v_add_f64_e32 v[0:1], v[51:52], v[0:1]
	v_mul_f64_e32 v[51:52], s[16:17], v[218:219]
	;; [unrolled: 4-line block ×5, first 2 shown]
	v_fma_f64 v[74:75], v[231:232], s[14:15], v[57:58]
	s_delay_alu instid0(VALU_DEP_1) | instskip(SKIP_1) | instid1(VALU_DEP_1)
	v_add_f64_e32 v[233:234], v[74:75], v[0:1]
	v_fma_f64 v[0:1], v[224:225], s[22:23], v[72:73]
	v_add_f64_e32 v[235:236], v[0:1], v[43:44]
	v_fma_f64 v[0:1], v[194:195], s[26:27], -v[39:40]
	v_fma_f64 v[39:40], v[184:185], s[28:29], v[41:42]
	v_fma_f64 v[41:42], v[206:207], s[2:3], -v[45:46]
	v_fma_f64 v[43:44], v[224:225], s[30:31], v[72:73]
	s_delay_alu instid0(VALU_DEP_4) | instskip(NEXT) | instid1(VALU_DEP_4)
	v_add_f64_e32 v[0:1], v[0:1], v[247:248]
	v_add_f64_e32 v[39:40], v[39:40], v[245:246]
	s_delay_alu instid0(VALU_DEP_2) | instskip(SKIP_1) | instid1(VALU_DEP_1)
	v_add_f64_e32 v[0:1], v[41:42], v[0:1]
	v_fma_f64 v[41:42], v[192:193], s[18:19], v[47:48]
	v_add_f64_e32 v[39:40], v[41:42], v[39:40]
	v_fma_f64 v[41:42], v[214:215], s[16:17], -v[49:50]
	s_delay_alu instid0(VALU_DEP_1) | instskip(SKIP_1) | instid1(VALU_DEP_1)
	v_add_f64_e32 v[0:1], v[41:42], v[0:1]
	v_fma_f64 v[41:42], v[204:205], s[38:39], v[51:52]
	v_add_f64_e32 v[39:40], v[41:42], v[39:40]
	v_fma_f64 v[41:42], v[220:221], s[8:9], -v[53:54]
	s_delay_alu instid0(VALU_DEP_1) | instskip(SKIP_1) | instid1(VALU_DEP_1)
	v_add_f64_e32 v[0:1], v[41:42], v[0:1]
	v_fma_f64 v[41:42], v[212:213], s[20:21], v[55:56]
	v_add_f64_e32 v[39:40], v[41:42], v[39:40]
	v_fma_f64 v[41:42], v[231:232], s[14:15], -v[57:58]
	s_delay_alu instid0(VALU_DEP_2) | instskip(NEXT) | instid1(VALU_DEP_2)
	v_add_f64_e32 v[239:240], v[43:44], v[39:40]
	v_add_f64_e32 v[237:238], v[41:42], v[0:1]
	v_fma_f64 v[0:1], v[194:195], s[16:17], -v[190:191]
	v_fma_f64 v[39:40], v[184:185], s[24:25], v[196:197]
	v_fma_f64 v[41:42], v[206:207], s[14:15], -v[198:199]
	v_fma_f64 v[43:44], v[192:193], s[22:23], v[200:201]
	s_delay_alu instid0(VALU_DEP_4) | instskip(NEXT) | instid1(VALU_DEP_4)
	v_add_f64_e32 v[0:1], v[0:1], v[186:187]
	v_add_f64_e32 v[39:40], v[39:40], v[188:189]
	s_delay_alu instid0(VALU_DEP_2) | instskip(NEXT) | instid1(VALU_DEP_2)
	v_add_f64_e32 v[0:1], v[41:42], v[0:1]
	v_add_f64_e32 v[39:40], v[43:44], v[39:40]
	v_fma_f64 v[41:42], v[214:215], s[8:9], -v[202:203]
	v_fma_f64 v[43:44], v[204:205], s[20:21], v[208:209]
	s_delay_alu instid0(VALU_DEP_2) | instskip(NEXT) | instid1(VALU_DEP_2)
	v_add_f64_e32 v[0:1], v[41:42], v[0:1]
	v_add_f64_e32 v[39:40], v[43:44], v[39:40]
	v_fma_f64 v[41:42], v[220:221], s[2:3], -v[210:211]
	v_fma_f64 v[43:44], v[212:213], s[18:19], v[216:217]
	s_delay_alu instid0(VALU_DEP_2) | instskip(NEXT) | instid1(VALU_DEP_2)
	v_add_f64_e32 v[0:1], v[41:42], v[0:1]
	v_add_f64_e32 v[39:40], v[43:44], v[39:40]
	v_fma_f64 v[41:42], v[231:232], s[0:1], -v[251:252]
	s_delay_alu instid0(VALU_DEP_2) | instskip(NEXT) | instid1(VALU_DEP_2)
	v_add_f64_e32 v[186:187], v[37:38], v[39:40]
	v_add_f64_e32 v[184:185], v[41:42], v[0:1]
	ds_store_b128 v16, v[6:9] offset:80
	ds_store_b128 v16, v[233:236] offset:96
	;; [unrolled: 1-line block ×4, first 2 shown]
	ds_store_b128 v16, v[180:183]
	ds_store_b128 v16, v[2:5] offset:128
	ds_store_b128 v16, v[10:13] offset:144
	;; [unrolled: 1-line block ×5, first 2 shown]
	s_and_saveexec_b32 s33, vcc_lo
	s_cbranch_execz .LBB0_13
; %bb.12:
	s_clause 0x1
	scratch_load_b128 v[18:21], off, off th:TH_LOAD_LU
	scratch_load_b128 v[28:31], off, off offset:16 th:TH_LOAD_LU
	v_add_f64_e32 v[0:1], v[170:171], v[174:175]
	v_add_f64_e32 v[2:3], v[168:169], v[172:173]
	scratch_load_b128 v[22:25], off, off offset:32 th:TH_LOAD_LU ; 16-byte Folded Reload
	v_add_f64_e64 v[12:13], v[88:89], -v[92:93]
	v_add_f64_e32 v[38:39], v[90:91], v[94:95]
	v_add_f64_e32 v[40:41], v[88:89], v[92:93]
	v_add_f64_e64 v[42:43], v[90:91], -v[94:95]
	v_add_f64_e64 v[44:45], v[76:77], -v[84:85]
	v_add_f64_e32 v[46:47], v[78:79], v[86:87]
	v_add_f64_e32 v[48:49], v[76:77], v[84:85]
	v_add_f64_e64 v[50:51], v[78:79], -v[86:87]
	v_mov_b32_e32 v16, v59
	v_add_f64_e64 v[178:179], v[108:109], -v[104:105]
	v_add_f64_e64 v[4:5], v[100:101], -v[96:97]
	;; [unrolled: 1-line block ×3, first 2 shown]
	v_add_f64_e32 v[176:177], v[110:111], v[106:107]
	s_delay_alu instid0(VALU_DEP_4)
	v_mul_f64_e32 v[186:187], s[30:31], v[178:179]
	s_wait_loadcnt 0x2
	v_add_f64_e32 v[0:1], v[0:1], v[20:21]
	v_add_f64_e32 v[2:3], v[2:3], v[18:19]
	s_wait_loadcnt 0x1
	v_add_f64_e64 v[26:27], v[174:175], -v[30:31]
	s_delay_alu instid0(VALU_DEP_3) | instskip(NEXT) | instid1(VALU_DEP_3)
	v_add_f64_e32 v[0:1], v[0:1], v[78:79]
	v_add_f64_e32 v[2:3], v[2:3], v[76:77]
	s_delay_alu instid0(VALU_DEP_3)
	v_mul_f64_e32 v[74:75], s[18:19], v[26:27]
	v_mul_f64_e32 v[76:77], s[20:21], v[26:27]
	;; [unrolled: 1-line block ×3, first 2 shown]
	v_add_f64_e32 v[0:1], v[0:1], v[90:91]
	v_add_f64_e32 v[2:3], v[2:3], v[88:89]
	s_wait_loadcnt 0x0
	v_add_f64_e64 v[88:89], v[18:19], -v[22:23]
	v_add_f64_e32 v[90:91], v[20:21], v[24:25]
	s_delay_alu instid0(VALU_DEP_4) | instskip(NEXT) | instid1(VALU_DEP_4)
	v_add_f64_e32 v[0:1], v[0:1], v[102:103]
	v_add_f64_e32 v[2:3], v[2:3], v[100:101]
	s_delay_alu instid0(VALU_DEP_2) | instskip(NEXT) | instid1(VALU_DEP_2)
	v_add_f64_e32 v[0:1], v[0:1], v[110:111]
	v_add_f64_e32 v[2:3], v[2:3], v[108:109]
	;; [unrolled: 1-line block ×3, first 2 shown]
	v_add_f64_e64 v[110:111], v[110:111], -v[106:107]
	s_delay_alu instid0(VALU_DEP_4) | instskip(NEXT) | instid1(VALU_DEP_4)
	v_add_f64_e32 v[8:9], v[0:1], v[106:107]
	v_add_f64_e32 v[10:11], v[2:3], v[104:105]
	;; [unrolled: 1-line block ×4, first 2 shown]
	v_mul_f64_e32 v[188:189], s[30:31], v[110:111]
	v_add_f64_e32 v[8:9], v[8:9], v[98:99]
	v_add_f64_e32 v[10:11], v[10:11], v[96:97]
	s_delay_alu instid0(VALU_DEP_2) | instskip(NEXT) | instid1(VALU_DEP_2)
	v_add_f64_e32 v[8:9], v[8:9], v[94:95]
	v_add_f64_e32 v[10:11], v[10:11], v[92:93]
	;; [unrolled: 1-line block ×3, first 2 shown]
	v_add_f64_e64 v[94:95], v[20:21], -v[24:25]
	v_add_f64_e64 v[20:21], v[172:173], -v[28:29]
	v_add_f64_e32 v[8:9], v[8:9], v[86:87]
	v_add_f64_e32 v[10:11], v[10:11], v[84:85]
	v_mul_f64_e32 v[84:85], s[24:25], v[26:27]
	s_delay_alu instid0(VALU_DEP_4)
	v_mul_f64_e32 v[32:33], s[22:23], v[20:21]
	v_mul_f64_e32 v[34:35], s[24:25], v[20:21]
	v_add_f64_e32 v[8:9], v[8:9], v[24:25]
	v_add_f64_e32 v[18:19], v[10:11], v[22:23]
	;; [unrolled: 1-line block ×4, first 2 shown]
	s_delay_alu instid0(VALU_DEP_4) | instskip(NEXT) | instid1(VALU_DEP_4)
	v_add_f64_e32 v[10:11], v[8:9], v[30:31]
	v_add_f64_e32 v[8:9], v[18:19], v[28:29]
	v_mul_f64_e32 v[18:19], s[12:13], v[20:21]
	v_mul_f64_e32 v[28:29], s[18:19], v[20:21]
	;; [unrolled: 1-line block ×4, first 2 shown]
	v_fma_f64 v[56:57], v[22:23], s[14:15], v[32:33]
	v_fma_f64 v[32:33], v[22:23], s[14:15], -v[32:33]
	v_fma_f64 v[58:59], v[22:23], s[16:17], v[34:35]
	v_fma_f64 v[34:35], v[22:23], s[16:17], -v[34:35]
	v_fma_f64 v[96:97], v[24:25], s[2:3], -v[74:75]
	v_fma_f64 v[74:75], v[24:25], s[2:3], v[74:75]
	v_fma_f64 v[98:99], v[24:25], s[8:9], -v[76:77]
	v_fma_f64 v[76:77], v[24:25], s[8:9], v[76:77]
	;; [unrolled: 2-line block ×4, first 2 shown]
	v_fma_f64 v[36:37], v[22:23], s[0:1], v[18:19]
	v_fma_f64 v[18:19], v[22:23], s[0:1], -v[18:19]
	v_fma_f64 v[52:53], v[22:23], s[2:3], v[28:29]
	v_fma_f64 v[28:29], v[22:23], s[2:3], -v[28:29]
	;; [unrolled: 2-line block ×4, first 2 shown]
	v_mul_f64_e32 v[22:23], s[12:13], v[26:27]
	v_mul_f64_e32 v[26:27], s[42:43], v[26:27]
	v_add_f64_e32 v[96:97], v[168:169], v[96:97]
	v_add_f64_e32 v[74:75], v[168:169], v[74:75]
	;; [unrolled: 1-line block ×14, first 2 shown]
	v_mul_f64_e32 v[28:29], s[18:19], v[44:45]
	v_add_f64_e32 v[172:173], v[170:171], v[30:31]
	v_add_f64_e32 v[54:55], v[170:171], v[54:55]
	;; [unrolled: 1-line block ×3, first 2 shown]
	v_fma_f64 v[86:87], v[24:25], s[0:1], -v[22:23]
	v_fma_f64 v[22:23], v[24:25], s[0:1], v[22:23]
	v_fma_f64 v[104:105], v[24:25], s[26:27], -v[26:27]
	v_fma_f64 v[24:25], v[24:25], s[26:27], v[26:27]
	v_add_f64_e32 v[26:27], v[170:171], v[36:37]
	v_fma_f64 v[30:31], v[46:47], s[2:3], v[28:29]
	v_add_f64_e32 v[36:37], v[168:169], v[86:87]
	v_add_f64_e32 v[22:23], v[168:169], v[22:23]
	;; [unrolled: 1-line block ×4, first 2 shown]
	v_mul_f64_e32 v[24:25], s[28:29], v[88:89]
	v_add_f64_e32 v[86:87], v[170:171], v[18:19]
	v_add_f64_e32 v[170:171], v[170:171], v[20:21]
	s_delay_alu instid0(VALU_DEP_3) | instskip(SKIP_1) | instid1(VALU_DEP_2)
	v_fma_f64 v[18:19], v[90:91], s[26:27], v[24:25]
	v_fma_f64 v[24:25], v[90:91], s[26:27], -v[24:25]
	v_add_f64_e32 v[18:19], v[18:19], v[26:27]
	v_mul_f64_e32 v[26:27], s[28:29], v[94:95]
	s_delay_alu instid0(VALU_DEP_3) | instskip(NEXT) | instid1(VALU_DEP_3)
	v_add_f64_e32 v[24:25], v[24:25], v[86:87]
	v_add_f64_e32 v[18:19], v[30:31], v[18:19]
	s_delay_alu instid0(VALU_DEP_3) | instskip(SKIP_2) | instid1(VALU_DEP_3)
	v_fma_f64 v[20:21], v[92:93], s[26:27], -v[26:27]
	v_mul_f64_e32 v[30:31], s[18:19], v[50:51]
	v_fma_f64 v[26:27], v[92:93], s[26:27], v[26:27]
	v_add_f64_e32 v[20:21], v[20:21], v[36:37]
	s_delay_alu instid0(VALU_DEP_3) | instskip(NEXT) | instid1(VALU_DEP_3)
	v_fma_f64 v[32:33], v[48:49], s[2:3], -v[30:31]
	v_add_f64_e32 v[22:23], v[26:27], v[22:23]
	v_fma_f64 v[26:27], v[46:47], s[2:3], -v[28:29]
	v_fma_f64 v[28:29], v[108:109], s[14:15], v[188:189]
	s_delay_alu instid0(VALU_DEP_4) | instskip(SKIP_1) | instid1(VALU_DEP_4)
	v_add_f64_e32 v[20:21], v[32:33], v[20:21]
	v_mul_f64_e32 v[32:33], s[38:39], v[12:13]
	v_add_f64_e32 v[24:25], v[26:27], v[24:25]
	v_fma_f64 v[26:27], v[48:49], s[2:3], v[30:31]
	v_mul_f64_e32 v[30:31], s[30:31], v[88:89]
	s_delay_alu instid0(VALU_DEP_4) | instskip(NEXT) | instid1(VALU_DEP_3)
	v_fma_f64 v[34:35], v[38:39], s[16:17], v[32:33]
	v_add_f64_e32 v[22:23], v[26:27], v[22:23]
	v_fma_f64 v[26:27], v[38:39], s[16:17], -v[32:33]
	v_mul_f64_e32 v[32:33], s[30:31], v[94:95]
	s_delay_alu instid0(VALU_DEP_4) | instskip(SKIP_1) | instid1(VALU_DEP_4)
	v_add_f64_e32 v[18:19], v[34:35], v[18:19]
	v_mul_f64_e32 v[34:35], s[38:39], v[42:43]
	v_add_f64_e32 v[24:25], v[26:27], v[24:25]
	s_delay_alu instid0(VALU_DEP_2) | instskip(SKIP_2) | instid1(VALU_DEP_3)
	v_fma_f64 v[36:37], v[40:41], s[16:17], -v[34:35]
	v_fma_f64 v[26:27], v[40:41], s[16:17], v[34:35]
	v_mul_f64_e32 v[34:35], s[24:25], v[44:45]
	v_add_f64_e32 v[20:21], v[36:37], v[20:21]
	v_mul_f64_e32 v[36:37], s[20:21], v[4:5]
	s_delay_alu instid0(VALU_DEP_4) | instskip(NEXT) | instid1(VALU_DEP_2)
	v_add_f64_e32 v[22:23], v[26:27], v[22:23]
	v_fma_f64 v[58:59], v[0:1], s[8:9], v[36:37]
	v_fma_f64 v[26:27], v[0:1], s[8:9], -v[36:37]
	v_fma_f64 v[36:37], v[46:47], s[16:17], v[34:35]
	v_fma_f64 v[34:35], v[46:47], s[16:17], -v[34:35]
	s_delay_alu instid0(VALU_DEP_4) | instskip(SKIP_2) | instid1(VALU_DEP_2)
	v_add_f64_e32 v[18:19], v[58:59], v[18:19]
	v_mul_f64_e32 v[58:59], s[20:21], v[6:7]
	v_add_f64_e32 v[24:25], v[26:27], v[24:25]
	v_fma_f64 v[26:27], v[2:3], s[8:9], v[58:59]
	v_fma_f64 v[72:73], v[2:3], s[8:9], -v[58:59]
	s_delay_alu instid0(VALU_DEP_2) | instskip(SKIP_1) | instid1(VALU_DEP_3)
	v_add_f64_e32 v[22:23], v[26:27], v[22:23]
	v_fma_f64 v[26:27], v[176:177], s[14:15], -v[186:187]
	v_add_f64_e32 v[72:73], v[72:73], v[20:21]
	v_fma_f64 v[20:21], v[176:177], s[14:15], v[186:187]
	v_mul_f64_e32 v[186:187], s[20:21], v[178:179]
	v_add_f64_e32 v[22:23], v[28:29], v[22:23]
	v_add_f64_e32 v[24:25], v[26:27], v[24:25]
	v_fma_f64 v[26:27], v[90:91], s[14:15], v[30:31]
	v_fma_f64 v[28:29], v[92:93], s[14:15], -v[32:33]
	v_fma_f64 v[30:31], v[90:91], s[14:15], -v[30:31]
	v_add_f64_e32 v[20:21], v[20:21], v[18:19]
	v_fma_f64 v[18:19], v[108:109], s[14:15], -v[188:189]
	v_fma_f64 v[32:33], v[92:93], s[14:15], v[32:33]
	v_mul_f64_e32 v[188:189], s[20:21], v[110:111]
	v_add_f64_e32 v[26:27], v[26:27], v[52:53]
	v_add_f64_e32 v[28:29], v[28:29], v[96:97]
	;; [unrolled: 1-line block ×6, first 2 shown]
	v_mul_f64_e32 v[36:37], s[24:25], v[50:51]
	v_add_f64_e32 v[30:31], v[34:35], v[30:31]
	s_delay_alu instid0(VALU_DEP_2) | instskip(SKIP_2) | instid1(VALU_DEP_3)
	v_fma_f64 v[52:53], v[48:49], s[16:17], -v[36:37]
	v_fma_f64 v[34:35], v[48:49], s[16:17], v[36:37]
	v_fma_f64 v[36:37], v[108:109], s[8:9], v[188:189]
	v_add_f64_e32 v[28:29], v[52:53], v[28:29]
	v_mul_f64_e32 v[52:53], s[40:41], v[12:13]
	s_delay_alu instid0(VALU_DEP_4) | instskip(NEXT) | instid1(VALU_DEP_2)
	v_add_f64_e32 v[32:33], v[34:35], v[32:33]
	v_fma_f64 v[58:59], v[38:39], s[0:1], v[52:53]
	v_fma_f64 v[34:35], v[38:39], s[0:1], -v[52:53]
	v_mul_f64_e32 v[52:53], s[34:35], v[88:89]
	s_delay_alu instid0(VALU_DEP_3) | instskip(SKIP_1) | instid1(VALU_DEP_4)
	v_add_f64_e32 v[26:27], v[58:59], v[26:27]
	v_mul_f64_e32 v[58:59], s[40:41], v[42:43]
	v_add_f64_e32 v[30:31], v[34:35], v[30:31]
	s_delay_alu instid0(VALU_DEP_2) | instskip(SKIP_2) | instid1(VALU_DEP_3)
	v_fma_f64 v[72:73], v[40:41], s[0:1], -v[58:59]
	v_fma_f64 v[34:35], v[40:41], s[0:1], v[58:59]
	v_mul_f64_e32 v[58:59], s[28:29], v[44:45]
	v_add_f64_e32 v[28:29], v[72:73], v[28:29]
	v_mul_f64_e32 v[72:73], s[28:29], v[4:5]
	s_delay_alu instid0(VALU_DEP_4) | instskip(NEXT) | instid1(VALU_DEP_2)
	v_add_f64_e32 v[32:33], v[34:35], v[32:33]
	v_fma_f64 v[86:87], v[0:1], s[26:27], v[72:73]
	v_fma_f64 v[34:35], v[0:1], s[26:27], -v[72:73]
	v_fma_f64 v[72:73], v[46:47], s[26:27], v[58:59]
	v_fma_f64 v[58:59], v[46:47], s[26:27], -v[58:59]
	s_delay_alu instid0(VALU_DEP_4) | instskip(SKIP_2) | instid1(VALU_DEP_2)
	v_add_f64_e32 v[26:27], v[86:87], v[26:27]
	v_mul_f64_e32 v[86:87], s[28:29], v[6:7]
	v_add_f64_e32 v[30:31], v[34:35], v[30:31]
	v_fma_f64 v[34:35], v[2:3], s[26:27], v[86:87]
	v_fma_f64 v[96:97], v[2:3], s[26:27], -v[86:87]
	s_delay_alu instid0(VALU_DEP_2) | instskip(SKIP_1) | instid1(VALU_DEP_3)
	v_add_f64_e32 v[34:35], v[34:35], v[32:33]
	v_fma_f64 v[32:33], v[176:177], s[8:9], -v[186:187]
	v_add_f64_e32 v[96:97], v[96:97], v[28:29]
	v_fma_f64 v[28:29], v[176:177], s[8:9], v[186:187]
	v_mul_f64_e32 v[186:187], s[38:39], v[178:179]
	s_delay_alu instid0(VALU_DEP_4)
	v_add_f64_e32 v[32:33], v[32:33], v[30:31]
	v_add_f64_e32 v[30:31], v[36:37], v[34:35]
	v_fma_f64 v[34:35], v[90:91], s[2:3], v[52:53]
	v_fma_f64 v[52:53], v[90:91], s[2:3], -v[52:53]
	v_add_f64_e32 v[28:29], v[28:29], v[26:27]
	v_fma_f64 v[26:27], v[108:109], s[8:9], -v[188:189]
	v_mul_f64_e32 v[188:189], s[38:39], v[110:111]
	v_add_f64_e32 v[34:35], v[34:35], v[54:55]
	v_mul_f64_e32 v[54:55], s[34:35], v[94:95]
	v_add_f64_e32 v[52:53], v[52:53], v[172:173]
	v_add_f64_e32 v[26:27], v[26:27], v[96:97]
	s_delay_alu instid0(VALU_DEP_4) | instskip(NEXT) | instid1(VALU_DEP_4)
	v_add_f64_e32 v[34:35], v[72:73], v[34:35]
	v_fma_f64 v[36:37], v[92:93], s[2:3], -v[54:55]
	v_mul_f64_e32 v[72:73], s[28:29], v[50:51]
	v_fma_f64 v[54:55], v[92:93], s[2:3], v[54:55]
	v_add_f64_e32 v[52:53], v[58:59], v[52:53]
	s_delay_alu instid0(VALU_DEP_4) | instskip(NEXT) | instid1(VALU_DEP_4)
	v_add_f64_e32 v[36:37], v[36:37], v[98:99]
	v_fma_f64 v[74:75], v[48:49], s[26:27], -v[72:73]
	s_delay_alu instid0(VALU_DEP_4)
	v_add_f64_e32 v[54:55], v[54:55], v[76:77]
	v_fma_f64 v[58:59], v[48:49], s[26:27], v[72:73]
	v_fma_f64 v[72:73], v[108:109], s[16:17], v[188:189]
	v_mul_f64_e32 v[76:77], s[36:37], v[44:45]
	v_add_f64_e32 v[36:37], v[74:75], v[36:37]
	v_mul_f64_e32 v[74:75], s[22:23], v[12:13]
	v_add_f64_e32 v[54:55], v[58:59], v[54:55]
	s_delay_alu instid0(VALU_DEP_2) | instskip(SKIP_2) | instid1(VALU_DEP_3)
	v_fma_f64 v[86:87], v[38:39], s[14:15], v[74:75]
	v_fma_f64 v[58:59], v[38:39], s[14:15], -v[74:75]
	v_mul_f64_e32 v[74:75], s[12:13], v[94:95]
	v_add_f64_e32 v[34:35], v[86:87], v[34:35]
	v_mul_f64_e32 v[86:87], s[22:23], v[42:43]
	s_delay_alu instid0(VALU_DEP_4) | instskip(NEXT) | instid1(VALU_DEP_2)
	v_add_f64_e32 v[52:53], v[58:59], v[52:53]
	v_fma_f64 v[96:97], v[40:41], s[14:15], -v[86:87]
	v_fma_f64 v[58:59], v[40:41], s[14:15], v[86:87]
	v_fma_f64 v[86:87], v[46:47], s[8:9], v[76:77]
	v_fma_f64 v[76:77], v[46:47], s[8:9], -v[76:77]
	s_delay_alu instid0(VALU_DEP_4) | instskip(SKIP_2) | instid1(VALU_DEP_2)
	v_add_f64_e32 v[36:37], v[96:97], v[36:37]
	v_mul_f64_e32 v[96:97], s[40:41], v[4:5]
	v_add_f64_e32 v[54:55], v[58:59], v[54:55]
	v_fma_f64 v[98:99], v[0:1], s[0:1], v[96:97]
	v_fma_f64 v[58:59], v[0:1], s[0:1], -v[96:97]
	s_delay_alu instid0(VALU_DEP_2) | instskip(SKIP_1) | instid1(VALU_DEP_3)
	v_add_f64_e32 v[34:35], v[98:99], v[34:35]
	v_mul_f64_e32 v[98:99], s[40:41], v[6:7]
	v_add_f64_e32 v[52:53], v[58:59], v[52:53]
	s_delay_alu instid0(VALU_DEP_2) | instskip(SKIP_1) | instid1(VALU_DEP_2)
	v_fma_f64 v[58:59], v[2:3], s[0:1], v[98:99]
	v_fma_f64 v[106:107], v[2:3], s[0:1], -v[98:99]
	v_add_f64_e32 v[58:59], v[58:59], v[54:55]
	v_fma_f64 v[54:55], v[176:177], s[16:17], -v[186:187]
	s_delay_alu instid0(VALU_DEP_3) | instskip(SKIP_2) | instid1(VALU_DEP_4)
	v_add_f64_e32 v[106:107], v[106:107], v[36:37]
	v_fma_f64 v[36:37], v[176:177], s[16:17], v[186:187]
	v_mul_f64_e32 v[186:187], s[18:19], v[178:179]
	v_add_f64_e32 v[54:55], v[54:55], v[52:53]
	v_add_f64_e32 v[52:53], v[72:73], v[58:59]
	v_mul_f64_e32 v[72:73], s[12:13], v[88:89]
	v_add_f64_e32 v[36:37], v[36:37], v[34:35]
	v_fma_f64 v[34:35], v[108:109], s[16:17], -v[188:189]
	v_mul_f64_e32 v[188:189], s[18:19], v[110:111]
	s_delay_alu instid0(VALU_DEP_4) | instskip(SKIP_1) | instid1(VALU_DEP_4)
	v_fma_f64 v[58:59], v[90:91], s[0:1], v[72:73]
	v_fma_f64 v[72:73], v[90:91], s[0:1], -v[72:73]
	v_add_f64_e32 v[34:35], v[34:35], v[106:107]
	s_delay_alu instid0(VALU_DEP_3) | instskip(SKIP_1) | instid1(VALU_DEP_4)
	v_add_f64_e32 v[56:57], v[58:59], v[56:57]
	v_fma_f64 v[58:59], v[92:93], s[0:1], -v[74:75]
	v_add_f64_e32 v[72:73], v[72:73], v[174:175]
	v_fma_f64 v[74:75], v[92:93], s[0:1], v[74:75]
	s_delay_alu instid0(VALU_DEP_4) | instskip(SKIP_2) | instid1(VALU_DEP_4)
	v_add_f64_e32 v[56:57], v[86:87], v[56:57]
	v_mul_f64_e32 v[86:87], s[36:37], v[50:51]
	v_add_f64_e32 v[58:59], v[58:59], v[100:101]
	v_add_f64_e32 v[74:75], v[74:75], v[78:79]
	;; [unrolled: 1-line block ×3, first 2 shown]
	v_fma_f64 v[78:79], v[108:109], s[2:3], v[188:189]
	v_fma_f64 v[96:97], v[48:49], s[8:9], -v[86:87]
	v_fma_f64 v[76:77], v[48:49], s[8:9], v[86:87]
	v_mul_f64_e32 v[86:87], s[20:21], v[88:89]
	v_mul_f64_e32 v[88:89], s[24:25], v[88:89]
	s_delay_alu instid0(VALU_DEP_4) | instskip(SKIP_2) | instid1(VALU_DEP_2)
	v_add_f64_e32 v[58:59], v[96:97], v[58:59]
	v_mul_f64_e32 v[96:97], s[28:29], v[12:13]
	v_add_f64_e32 v[74:75], v[76:77], v[74:75]
	v_fma_f64 v[98:99], v[38:39], s[26:27], v[96:97]
	v_fma_f64 v[76:77], v[38:39], s[26:27], -v[96:97]
	v_mul_f64_e32 v[96:97], s[20:21], v[94:95]
	v_mul_f64_e32 v[94:95], s[24:25], v[94:95]
	s_delay_alu instid0(VALU_DEP_4) | instskip(SKIP_2) | instid1(VALU_DEP_2)
	v_add_f64_e32 v[56:57], v[98:99], v[56:57]
	v_mul_f64_e32 v[98:99], s[28:29], v[42:43]
	v_add_f64_e32 v[72:73], v[76:77], v[72:73]
	v_fma_f64 v[100:101], v[40:41], s[26:27], -v[98:99]
	v_fma_f64 v[76:77], v[40:41], s[26:27], v[98:99]
	v_mul_f64_e32 v[98:99], s[12:13], v[44:45]
	v_mul_f64_e32 v[44:45], s[22:23], v[44:45]
	s_delay_alu instid0(VALU_DEP_4) | instskip(SKIP_2) | instid1(VALU_DEP_2)
	v_add_f64_e32 v[58:59], v[100:101], v[58:59]
	v_mul_f64_e32 v[100:101], s[24:25], v[4:5]
	v_add_f64_e32 v[74:75], v[76:77], v[74:75]
	v_fma_f64 v[106:107], v[0:1], s[16:17], v[100:101]
	v_fma_f64 v[76:77], v[0:1], s[16:17], -v[100:101]
	v_fma_f64 v[100:101], v[46:47], s[0:1], v[98:99]
	s_delay_alu instid0(VALU_DEP_3) | instskip(SKIP_1) | instid1(VALU_DEP_4)
	v_add_f64_e32 v[56:57], v[106:107], v[56:57]
	v_mul_f64_e32 v[106:107], s[24:25], v[6:7]
	v_add_f64_e32 v[72:73], v[76:77], v[72:73]
	s_delay_alu instid0(VALU_DEP_2) | instskip(SKIP_1) | instid1(VALU_DEP_2)
	v_fma_f64 v[76:77], v[2:3], s[16:17], v[106:107]
	v_fma_f64 v[172:173], v[2:3], s[16:17], -v[106:107]
	v_add_f64_e32 v[76:77], v[76:77], v[74:75]
	v_fma_f64 v[74:75], v[176:177], s[2:3], -v[186:187]
	s_delay_alu instid0(VALU_DEP_3) | instskip(SKIP_2) | instid1(VALU_DEP_4)
	v_add_f64_e32 v[172:173], v[172:173], v[58:59]
	v_fma_f64 v[58:59], v[176:177], s[2:3], v[186:187]
	v_mul_f64_e32 v[186:187], s[28:29], v[178:179]
	v_add_f64_e32 v[74:75], v[74:75], v[72:73]
	v_add_f64_e32 v[72:73], v[78:79], v[76:77]
	v_fma_f64 v[76:77], v[90:91], s[8:9], v[86:87]
	v_fma_f64 v[78:79], v[92:93], s[8:9], -v[96:97]
	v_fma_f64 v[86:87], v[90:91], s[8:9], -v[86:87]
	v_fma_f64 v[96:97], v[92:93], s[8:9], v[96:97]
	v_add_f64_e32 v[58:59], v[58:59], v[56:57]
	v_fma_f64 v[56:57], v[108:109], s[2:3], -v[188:189]
	v_mul_f64_e32 v[188:189], s[28:29], v[110:111]
	v_add_f64_e32 v[76:77], v[76:77], v[180:181]
	v_add_f64_e32 v[78:79], v[78:79], v[102:103]
	;; [unrolled: 1-line block ×4, first 2 shown]
	v_fma_f64 v[96:97], v[46:47], s[0:1], -v[98:99]
	v_add_f64_e32 v[56:57], v[56:57], v[172:173]
	v_fma_f64 v[98:99], v[108:109], s[26:27], v[188:189]
	v_add_f64_e32 v[76:77], v[100:101], v[76:77]
	v_mul_f64_e32 v[100:101], s[12:13], v[50:51]
	v_mul_f64_e32 v[50:51], s[22:23], v[50:51]
	v_add_f64_e32 v[86:87], v[96:97], v[86:87]
	s_delay_alu instid0(VALU_DEP_3)
	v_fma_f64 v[102:103], v[48:49], s[0:1], -v[100:101]
	v_fma_f64 v[96:97], v[48:49], s[0:1], v[100:101]
	v_fma_f64 v[100:101], v[46:47], s[14:15], -v[44:45]
	v_fma_f64 v[44:45], v[46:47], s[14:15], v[44:45]
	v_fma_f64 v[46:47], v[48:49], s[14:15], -v[50:51]
	v_add_f64_e32 v[78:79], v[102:103], v[78:79]
	v_mul_f64_e32 v[102:103], s[34:35], v[12:13]
	v_add_f64_e32 v[84:85], v[96:97], v[84:85]
	v_mul_f64_e32 v[12:13], s[20:21], v[12:13]
	s_delay_alu instid0(VALU_DEP_3) | instskip(SKIP_2) | instid1(VALU_DEP_3)
	v_fma_f64 v[106:107], v[38:39], s[2:3], v[102:103]
	v_fma_f64 v[96:97], v[38:39], s[2:3], -v[102:103]
	v_mul_f64_e32 v[102:103], s[12:13], v[178:179]
	v_add_f64_e32 v[76:77], v[106:107], v[76:77]
	v_mul_f64_e32 v[106:107], s[34:35], v[42:43]
	s_delay_alu instid0(VALU_DEP_4) | instskip(SKIP_1) | instid1(VALU_DEP_3)
	v_add_f64_e32 v[86:87], v[96:97], v[86:87]
	v_mul_f64_e32 v[42:43], s[20:21], v[42:43]
	v_fma_f64 v[172:173], v[40:41], s[2:3], -v[106:107]
	v_fma_f64 v[96:97], v[40:41], s[2:3], v[106:107]
	v_mul_f64_e32 v[106:107], s[12:13], v[110:111]
	s_delay_alu instid0(VALU_DEP_3) | instskip(SKIP_1) | instid1(VALU_DEP_4)
	v_add_f64_e32 v[78:79], v[172:173], v[78:79]
	v_mul_f64_e32 v[172:173], s[30:31], v[4:5]
	v_add_f64_e32 v[84:85], v[96:97], v[84:85]
	s_delay_alu instid0(VALU_DEP_2) | instskip(SKIP_1) | instid1(VALU_DEP_2)
	v_fma_f64 v[174:175], v[0:1], s[14:15], v[172:173]
	v_fma_f64 v[96:97], v[0:1], s[14:15], -v[172:173]
	v_add_f64_e32 v[76:77], v[174:175], v[76:77]
	v_mul_f64_e32 v[174:175], s[30:31], v[6:7]
	s_delay_alu instid0(VALU_DEP_3) | instskip(NEXT) | instid1(VALU_DEP_2)
	v_add_f64_e32 v[86:87], v[96:97], v[86:87]
	v_fma_f64 v[96:97], v[2:3], s[14:15], v[174:175]
	v_fma_f64 v[180:181], v[2:3], s[14:15], -v[174:175]
	s_delay_alu instid0(VALU_DEP_2) | instskip(SKIP_1) | instid1(VALU_DEP_3)
	v_add_f64_e32 v[84:85], v[96:97], v[84:85]
	v_fma_f64 v[96:97], v[176:177], s[26:27], -v[186:187]
	v_add_f64_e32 v[180:181], v[180:181], v[78:79]
	v_fma_f64 v[78:79], v[176:177], s[26:27], v[186:187]
	s_delay_alu instid0(VALU_DEP_4) | instskip(NEXT) | instid1(VALU_DEP_4)
	v_add_f64_e32 v[84:85], v[98:99], v[84:85]
	v_add_f64_e32 v[86:87], v[96:97], v[86:87]
	v_fma_f64 v[96:97], v[90:91], s[16:17], -v[88:89]
	v_fma_f64 v[98:99], v[92:93], s[16:17], v[94:95]
	v_fma_f64 v[88:89], v[90:91], s[16:17], v[88:89]
	v_fma_f64 v[90:91], v[92:93], s[16:17], -v[94:95]
	v_add_f64_e32 v[78:79], v[78:79], v[76:77]
	v_fma_f64 v[76:77], v[108:109], s[26:27], -v[188:189]
	v_add_f64_e32 v[96:97], v[96:97], v[170:171]
	v_add_f64_e32 v[98:99], v[98:99], v[168:169]
	s_delay_alu instid0(VALU_DEP_3) | instskip(NEXT) | instid1(VALU_DEP_3)
	v_add_f64_e32 v[76:77], v[76:77], v[180:181]
	v_add_f64_e32 v[96:97], v[100:101], v[96:97]
	v_fma_f64 v[100:101], v[48:49], s[14:15], v[50:51]
	v_add_f64_e32 v[48:49], v[88:89], v[184:185]
	v_add_f64_e32 v[50:51], v[90:91], v[104:105]
	s_delay_alu instid0(VALU_DEP_3) | instskip(SKIP_3) | instid1(VALU_DEP_3)
	v_add_f64_e32 v[98:99], v[100:101], v[98:99]
	v_fma_f64 v[100:101], v[38:39], s[8:9], -v[12:13]
	v_fma_f64 v[12:13], v[38:39], s[8:9], v[12:13]
	v_fma_f64 v[38:39], v[40:41], s[8:9], -v[42:43]
	v_add_f64_e32 v[96:97], v[100:101], v[96:97]
	v_fma_f64 v[100:101], v[40:41], s[8:9], v[42:43]
	v_add_f64_e32 v[40:41], v[44:45], v[48:49]
	v_add_f64_e32 v[42:43], v[46:47], v[50:51]
	s_delay_alu instid0(VALU_DEP_3) | instskip(SKIP_1) | instid1(VALU_DEP_4)
	v_add_f64_e32 v[98:99], v[100:101], v[98:99]
	v_mul_f64_e32 v[100:101], s[18:19], v[4:5]
	v_add_f64_e32 v[12:13], v[12:13], v[40:41]
	s_delay_alu instid0(VALU_DEP_4) | instskip(SKIP_4) | instid1(VALU_DEP_2)
	v_add_f64_e32 v[38:39], v[38:39], v[42:43]
	v_fma_f64 v[40:41], v[176:177], s[0:1], v[102:103]
	v_fma_f64 v[42:43], v[108:109], s[0:1], -v[106:107]
	v_fma_f64 v[4:5], v[0:1], s[2:3], -v[100:101]
	v_fma_f64 v[0:1], v[0:1], s[2:3], v[100:101]
	v_add_f64_e32 v[4:5], v[4:5], v[96:97]
	v_mul_f64_e32 v[96:97], s[18:19], v[6:7]
	s_delay_alu instid0(VALU_DEP_3) | instskip(NEXT) | instid1(VALU_DEP_2)
	v_add_f64_e32 v[0:1], v[0:1], v[12:13]
	v_fma_f64 v[6:7], v[2:3], s[2:3], v[96:97]
	v_fma_f64 v[2:3], v[2:3], s[2:3], -v[96:97]
	s_delay_alu instid0(VALU_DEP_2) | instskip(NEXT) | instid1(VALU_DEP_2)
	v_add_f64_e32 v[98:99], v[6:7], v[98:99]
	v_add_f64_e32 v[12:13], v[2:3], v[38:39]
	;; [unrolled: 1-line block ×3, first 2 shown]
	v_fma_f64 v[6:7], v[176:177], s[0:1], -v[102:103]
	s_delay_alu instid0(VALU_DEP_3) | instskip(SKIP_3) | instid1(VALU_DEP_1)
	v_add_f64_e32 v[0:1], v[42:43], v[12:13]
	scratch_load_b32 v12, off, off offset:288 th:TH_LOAD_LU ; 4-byte Folded Reload
	v_add_f64_e32 v[6:7], v[6:7], v[4:5]
	v_fma_f64 v[4:5], v[108:109], s[0:1], v[106:107]
	v_add_f64_e32 v[4:5], v[4:5], v[98:99]
	s_wait_loadcnt 0x0
	v_lshl_add_u32 v12, v12, 4, v16
	ds_store_b128 v12, v[84:87] offset:32
	ds_store_b128 v12, v[72:75] offset:48
	;; [unrolled: 1-line block ×11, first 2 shown]
	ds_store_b128 v12, v[8:11]
	ds_store_b128 v12, v[0:3] offset:192
.LBB0_13:
	s_or_b32 exec_lo, exec_lo, s33
	global_wb scope:SCOPE_SE
	s_wait_dscnt 0x0
	s_barrier_signal -1
	s_barrier_wait -1
	global_inv scope:SCOPE_SE
	ds_load_b128 v[0:3], v255 offset:624
	ds_load_b128 v[4:7], v255 offset:1248
	;; [unrolled: 1-line block ×13, first 2 shown]
	s_mov_b32 s8, 0x134454ff
	s_mov_b32 s9, 0xbfee6f0e
	;; [unrolled: 1-line block ×3, first 2 shown]
	s_wait_alu 0xfffe
	s_mov_b32 s12, s8
	s_mov_b32 s0, 0x4755a5e
	;; [unrolled: 1-line block ×4, first 2 shown]
	s_wait_dscnt 0xc
	v_mul_f64_e32 v[12:13], v[70:71], v[2:3]
	s_wait_dscnt 0xb
	v_mul_f64_e32 v[40:41], v[66:67], v[6:7]
	;; [unrolled: 2-line block ×3, first 2 shown]
	v_mul_f64_e32 v[44:45], v[66:67], v[4:5]
	v_mul_f64_e32 v[50:51], v[62:63], v[8:9]
	;; [unrolled: 1-line block ×3, first 2 shown]
	s_wait_dscnt 0x9
	v_mul_f64_e32 v[46:47], v[82:83], v[20:21]
	v_mul_f64_e32 v[48:49], v[82:83], v[18:19]
	s_wait_dscnt 0x7
	v_mul_f64_e32 v[90:91], v[66:67], v[28:29]
	s_wait_dscnt 0x6
	v_mul_f64_e32 v[92:93], v[62:63], v[32:33]
	v_mul_f64_e32 v[66:67], v[66:67], v[26:27]
	;; [unrolled: 1-line block ×5, first 2 shown]
	s_wait_dscnt 0x5
	v_mul_f64_e32 v[94:95], v[82:83], v[36:37]
	v_mul_f64_e32 v[82:83], v[82:83], v[34:35]
	s_wait_dscnt 0x3
	v_mul_f64_e32 v[96:97], v[126:127], v[58:59]
	s_wait_dscnt 0x2
	;; [unrolled: 2-line block ×3, first 2 shown]
	v_mul_f64_e32 v[102:103], v[134:135], v[78:79]
	v_mul_f64_e32 v[104:105], v[122:123], v[72:73]
	;; [unrolled: 1-line block ×4, first 2 shown]
	s_wait_dscnt 0x0
	v_mul_f64_e32 v[106:107], v[130:131], v[86:87]
	v_mul_f64_e32 v[110:111], v[130:131], v[84:85]
	s_wait_alu 0xfffe
	s_mov_b32 s2, s0
	v_fma_f64 v[12:13], v[68:69], v[0:1], v[12:13]
	v_fma_f64 v[40:41], v[64:65], v[4:5], v[40:41]
	;; [unrolled: 1-line block ×3, first 2 shown]
	v_fma_f64 v[42:43], v[64:65], v[6:7], -v[44:45]
	v_fma_f64 v[10:11], v[60:61], v[10:11], -v[50:51]
	;; [unrolled: 1-line block ×3, first 2 shown]
	v_fma_f64 v[18:19], v[80:81], v[18:19], v[46:47]
	v_fma_f64 v[20:21], v[80:81], v[20:21], -v[48:49]
	v_fma_f64 v[26:27], v[64:65], v[26:27], v[90:91]
	v_fma_f64 v[30:31], v[60:61], v[30:31], v[92:93]
	v_fma_f64 v[28:29], v[64:65], v[28:29], -v[66:67]
	v_fma_f64 v[32:33], v[60:61], v[32:33], -v[62:63]
	v_fma_f64 v[22:23], v[68:69], v[22:23], v[88:89]
	v_fma_f64 v[24:25], v[68:69], v[24:25], -v[70:71]
	v_fma_f64 v[34:35], v[80:81], v[34:35], v[94:95]
	;; [unrolled: 2-line block ×3, first 2 shown]
	v_fma_f64 v[48:49], v[120:121], v[72:73], v[100:101]
	v_fma_f64 v[50:51], v[132:133], v[76:77], v[102:103]
	v_fma_f64 v[56:57], v[120:121], v[74:75], -v[104:105]
	v_fma_f64 v[60:61], v[132:133], v[78:79], -v[108:109]
	;; [unrolled: 1-line block ×3, first 2 shown]
	v_fma_f64 v[58:59], v[128:129], v[84:85], v[106:107]
	v_fma_f64 v[62:63], v[128:129], v[86:87], -v[110:111]
	ds_load_b128 v[0:3], v255
	ds_load_b128 v[4:7], v255 offset:208
	global_wb scope:SCOPE_SE
	s_wait_dscnt 0x0
	s_barrier_signal -1
	s_barrier_wait -1
	global_inv scope:SCOPE_SE
	v_add_f64_e64 v[78:79], v[12:13], -v[40:41]
	v_add_f64_e32 v[64:65], v[40:41], v[8:9]
	v_add_f64_e64 v[86:87], v[40:41], -v[12:13]
	v_add_f64_e32 v[72:73], v[42:43], v[10:11]
	;; [unrolled: 2-line block ×3, first 2 shown]
	v_add_f64_e32 v[76:77], v[38:39], v[20:21]
	v_add_f64_e32 v[66:67], v[0:1], v[12:13]
	;; [unrolled: 1-line block ×5, first 2 shown]
	v_add_f64_e64 v[70:71], v[38:39], -v[20:21]
	v_add_f64_e64 v[82:83], v[18:19], -v[8:9]
	v_add_f64_e32 v[84:85], v[22:23], v[34:35]
	v_add_f64_e32 v[92:93], v[24:25], v[36:37]
	v_add_f64_e64 v[90:91], v[8:9], -v[18:19]
	v_add_f64_e64 v[12:13], v[12:13], -v[18:19]
	v_add_f64_e32 v[96:97], v[48:49], v[50:51]
	v_add_f64_e32 v[120:121], v[4:5], v[22:23]
	;; [unrolled: 1-line block ×7, first 2 shown]
	v_add_f64_e64 v[100:101], v[40:41], -v[8:9]
	v_add_f64_e64 v[106:107], v[38:39], -v[42:43]
	;; [unrolled: 1-line block ×3, first 2 shown]
	v_add_f64_e32 v[172:173], v[54:55], v[46:47]
	v_add_f64_e64 v[122:123], v[24:25], -v[36:37]
	v_add_f64_e64 v[126:127], v[22:23], -v[26:27]
	;; [unrolled: 1-line block ×11, first 2 shown]
	v_fma_f64 v[64:65], v[64:65], -0.5, v[0:1]
	v_add_f64_e64 v[24:25], v[28:29], -v[24:25]
	v_fma_f64 v[72:73], v[72:73], -0.5, v[2:3]
	v_add_f64_e64 v[178:179], v[44:45], -v[48:49]
	v_fma_f64 v[0:1], v[68:69], -0.5, v[0:1]
	v_fma_f64 v[2:3], v[76:77], -0.5, v[2:3]
	v_add_f64_e32 v[40:41], v[66:67], v[40:41]
	v_fma_f64 v[80:81], v[80:81], -0.5, v[4:5]
	v_add_f64_e32 v[42:43], v[94:95], v[42:43]
	v_fma_f64 v[88:89], v[88:89], -0.5, v[6:7]
	v_add_f64_e64 v[76:77], v[32:33], -v[36:37]
	v_add_f64_e64 v[44:45], v[48:49], -v[44:45]
	v_fma_f64 v[4:5], v[84:85], -0.5, v[4:5]
	v_fma_f64 v[6:7], v[92:93], -0.5, v[6:7]
	v_add_f64_e64 v[84:85], v[56:57], -v[60:61]
	v_add_f64_e32 v[66:67], v[78:79], v[82:83]
	v_fma_f64 v[96:97], v[96:97], -0.5, v[52:53]
	v_add_f64_e32 v[78:79], v[86:87], v[90:91]
	v_fma_f64 v[102:103], v[102:103], -0.5, v[54:55]
	;; [unrolled: 2-line block ×3, first 2 shown]
	v_add_f64_e64 v[98:99], v[48:49], -v[50:51]
	v_fma_f64 v[54:55], v[104:105], -0.5, v[54:55]
	v_add_f64_e32 v[28:29], v[134:135], v[28:29]
	v_add_f64_e32 v[48:49], v[170:171], v[48:49]
	v_add_f64_e64 v[182:183], v[46:47], -v[56:57]
	v_add_f64_e64 v[46:47], v[56:57], -v[46:47]
	v_add_f64_e32 v[82:83], v[106:107], v[108:109]
	v_add_f64_e32 v[56:57], v[172:173], v[56:57]
	v_add_f64_e64 v[128:129], v[34:35], -v[30:31]
	v_add_f64_e64 v[68:69], v[36:37], -v[32:33]
	;; [unrolled: 1-line block ×3, first 2 shown]
	v_add_f64_e32 v[38:39], v[38:39], v[110:111]
	v_add_f64_e64 v[92:93], v[58:59], -v[50:51]
	v_add_f64_e64 v[104:105], v[50:51], -v[58:59]
	;; [unrolled: 1-line block ×4, first 2 shown]
	v_fma_f64 v[86:87], v[70:71], s[8:9], v[64:65]
	v_fma_f64 v[64:65], v[70:71], s[12:13], v[64:65]
	v_fma_f64 v[94:95], v[12:13], s[12:13], v[72:73]
	v_fma_f64 v[72:73], v[12:13], s[8:9], v[72:73]
	v_fma_f64 v[90:91], v[74:75], s[12:13], v[0:1]
	v_fma_f64 v[106:107], v[100:101], s[8:9], v[2:3]
	v_fma_f64 v[0:1], v[74:75], s[8:9], v[0:1]
	v_fma_f64 v[2:3], v[100:101], s[12:13], v[2:3]
	v_fma_f64 v[108:109], v[122:123], s[8:9], v[80:81]
	v_fma_f64 v[80:81], v[122:123], s[12:13], v[80:81]
	v_fma_f64 v[120:121], v[22:23], s[12:13], v[88:89]
	v_fma_f64 v[88:89], v[22:23], s[8:9], v[88:89]
	v_fma_f64 v[110:111], v[124:125], s[12:13], v[4:5]
	v_fma_f64 v[134:135], v[168:169], s[8:9], v[6:7]
	v_fma_f64 v[4:5], v[124:125], s[8:9], v[4:5]
	v_fma_f64 v[6:7], v[168:169], s[12:13], v[6:7]
	v_fma_f64 v[170:171], v[176:177], s[8:9], v[96:97]
	v_fma_f64 v[96:97], v[176:177], s[12:13], v[96:97]
	v_fma_f64 v[188:189], v[180:181], s[12:13], v[102:103]
	v_fma_f64 v[102:103], v[180:181], s[8:9], v[102:103]
	v_fma_f64 v[172:173], v[84:85], s[12:13], v[52:53]
	v_fma_f64 v[52:53], v[84:85], s[8:9], v[52:53]
	v_fma_f64 v[190:191], v[98:99], s[8:9], v[54:55]
	v_fma_f64 v[54:55], v[98:99], s[12:13], v[54:55]
	v_add_f64_e32 v[8:9], v[40:41], v[8:9]
	v_add_f64_e32 v[10:11], v[42:43], v[10:11]
	;; [unrolled: 1-line block ×14, first 2 shown]
	v_fma_f64 v[32:33], v[74:75], s[0:1], v[86:87]
	s_wait_alu 0xfffe
	v_fma_f64 v[40:41], v[74:75], s[2:3], v[64:65]
	v_fma_f64 v[50:51], v[100:101], s[2:3], v[94:95]
	;; [unrolled: 1-line block ×23, first 2 shown]
	s_mov_b32 s0, 0x372fe950
	s_mov_b32 s1, 0x3fd3c6ef
	v_add_f64_e32 v[0:1], v[8:9], v[18:19]
	v_add_f64_e32 v[2:3], v[10:11], v[20:21]
	;; [unrolled: 1-line block ×6, first 2 shown]
	s_mov_b32 s3, 0x3febb67a
	s_wait_alu 0xfffe
	v_fma_f64 v[18:19], v[66:67], s[0:1], v[32:33]
	v_fma_f64 v[22:23], v[66:67], s[0:1], v[40:41]
	;; [unrolled: 1-line block ×24, first 2 shown]
	s_mov_b32 s0, 0xe8584caa
	s_mov_b32 s1, 0xbfebb67a
	s_wait_alu 0xfffe
	s_mov_b32 s2, s0
	ds_store_b128 v255, v[0:3]
	ds_store_b128 v255, v[18:21] offset:208
	ds_store_b128 v255, v[26:29] offset:416
	;; [unrolled: 1-line block ×14, first 2 shown]
	global_wb scope:SCOPE_SE
	s_wait_dscnt 0x0
	s_barrier_signal -1
	s_barrier_wait -1
	global_inv scope:SCOPE_SE
	ds_load_b128 v[0:3], v255 offset:1040
	ds_load_b128 v[4:7], v255 offset:2080
	;; [unrolled: 1-line block ×11, first 2 shown]
	s_wait_dscnt 0xa
	v_mul_f64_e32 v[12:13], v[114:115], v[2:3]
	s_wait_dscnt 0x9
	v_mul_f64_e32 v[38:39], v[118:119], v[6:7]
	v_mul_f64_e32 v[15:16], v[114:115], v[0:1]
	;; [unrolled: 1-line block ×3, first 2 shown]
	s_wait_dscnt 0x6
	v_mul_f64_e32 v[50:51], v[150:151], v[24:25]
	v_mul_f64_e32 v[42:43], v[142:143], v[10:11]
	;; [unrolled: 1-line block ×4, first 2 shown]
	s_wait_dscnt 0x2
	v_mul_f64_e32 v[78:79], v[166:167], v[54:55]
	s_wait_dscnt 0x1
	v_mul_f64_e32 v[80:81], v[162:163], v[58:59]
	v_mul_f64_e32 v[84:85], v[162:163], v[56:57]
	;; [unrolled: 1-line block ×11, first 2 shown]
	v_mad_co_u64_u32 v[114:115], null, s4, v230, 0
	v_fma_f64 v[12:13], v[112:113], v[0:1], v[12:13]
	v_fma_f64 v[38:39], v[116:117], v[4:5], v[38:39]
	v_fma_f64 v[15:16], v[112:113], v[2:3], -v[15:16]
	ds_load_b128 v[0:3], v255
	v_fma_f64 v[22:23], v[148:149], v[22:23], v[50:51]
	v_fma_f64 v[40:41], v[116:117], v[6:7], -v[40:41]
	ds_load_b128 v[4:7], v255 offset:208
	v_fma_f64 v[42:43], v[140:141], v[8:9], v[42:43]
	v_fma_f64 v[50:51], v[164:165], v[52:53], v[78:79]
	;; [unrolled: 1-line block ×3, first 2 shown]
	v_fma_f64 v[56:57], v[160:161], v[58:59], -v[84:85]
	v_fma_f64 v[44:45], v[140:141], v[10:11], -v[44:45]
	v_fma_f64 v[46:47], v[136:137], v[18:19], v[46:47]
	v_fma_f64 v[48:49], v[136:137], v[20:21], -v[48:49]
	v_fma_f64 v[54:55], v[164:165], v[54:55], -v[82:83]
	ds_load_b128 v[8:11], v255 offset:416
	ds_load_b128 v[18:21], v255 offset:624
	v_fma_f64 v[24:25], v[148:149], v[24:25], -v[64:65]
	v_fma_f64 v[26:27], v[144:145], v[26:27], v[66:67]
	v_fma_f64 v[28:29], v[144:145], v[28:29], -v[68:69]
	v_fma_f64 v[30:31], v[156:157], v[30:31], v[70:71]
	v_fma_f64 v[34:35], v[152:153], v[34:35], v[72:73]
	v_fma_f64 v[32:33], v[156:157], v[32:33], -v[74:75]
	v_fma_f64 v[36:37], v[152:153], v[36:37], -v[76:77]
	s_wait_dscnt 0x3
	v_add_f64_e32 v[82:83], v[0:1], v[12:13]
	v_add_f64_e32 v[58:59], v[12:13], v[38:39]
	v_add_f64_e64 v[12:13], v[12:13], -v[38:39]
	s_wait_dscnt 0x1
	v_add_f64_e32 v[90:91], v[8:9], v[22:23]
	v_add_f64_e32 v[64:65], v[15:16], v[40:41]
	v_add_f64_e64 v[84:85], v[15:16], -v[40:41]
	v_add_f64_e32 v[15:16], v[2:3], v[15:16]
	v_add_f64_e32 v[86:87], v[4:5], v[42:43]
	;; [unrolled: 1-line block ×12, first 2 shown]
	s_wait_dscnt 0x0
	v_add_f64_e32 v[94:95], v[18:19], v[30:31]
	v_add_f64_e32 v[74:75], v[30:31], v[34:35]
	;; [unrolled: 1-line block ×4, first 2 shown]
	v_add_f64_e64 v[44:45], v[44:45], -v[48:49]
	v_add_f64_e64 v[42:43], v[42:43], -v[46:47]
	;; [unrolled: 1-line block ×8, first 2 shown]
	v_fma_f64 v[58:59], v[58:59], -0.5, v[0:1]
	scratch_load_b64 v[0:1], off, off offset:208 th:TH_LOAD_LU ; 8-byte Folded Reload
	v_fma_f64 v[64:65], v[64:65], -0.5, v[2:3]
	v_add_f64_e32 v[2:3], v[15:16], v[40:41]
	v_fma_f64 v[78:79], v[78:79], -0.5, v[60:61]
	v_add_f64_e32 v[22:23], v[98:99], v[52:53]
	v_fma_f64 v[66:67], v[66:67], -0.5, v[4:5]
	v_fma_f64 v[68:69], v[68:69], -0.5, v[6:7]
	;; [unrolled: 1-line block ×3, first 2 shown]
	v_add_f64_e32 v[4:5], v[86:87], v[46:47]
	v_add_f64_e32 v[6:7], v[88:89], v[48:49]
	v_fma_f64 v[70:71], v[70:71], -0.5, v[8:9]
	v_fma_f64 v[72:73], v[72:73], -0.5, v[10:11]
	v_add_f64_e32 v[8:9], v[90:91], v[26:27]
	v_fma_f64 v[74:75], v[74:75], -0.5, v[18:19]
	v_add_f64_e32 v[10:11], v[92:93], v[28:29]
	;; [unrolled: 2-line block ×3, first 2 shown]
	v_add_f64_e32 v[20:21], v[96:97], v[36:37]
	v_add_f64_e32 v[24:25], v[100:101], v[56:57]
	v_fma_f64 v[26:27], v[84:85], s[0:1], v[58:59]
	s_wait_alu 0xfffe
	v_fma_f64 v[30:31], v[84:85], s[2:3], v[58:59]
	v_fma_f64 v[28:29], v[12:13], s[2:3], v[64:65]
	;; [unrolled: 1-line block ×3, first 2 shown]
	v_mov_b32_e32 v13, v115
	v_fma_f64 v[34:35], v[44:45], s[0:1], v[66:67]
	v_fma_f64 v[36:37], v[42:43], s[2:3], v[68:69]
	;; [unrolled: 1-line block ×16, first 2 shown]
	s_mov_b32 s2, 0x15015015
	s_mov_b32 s3, 0x3f750150
	s_wait_loadcnt 0x0
	v_mov_b32_e32 v116, v0
	v_add_f64_e32 v[0:1], v[82:83], v[38:39]
	ds_store_b128 v255, v[0:3]
	ds_store_b128 v14, v[4:7] offset:208
	ds_store_b128 v14, v[8:11] offset:416
	;; [unrolled: 1-line block ×14, first 2 shown]
	v_mad_co_u64_u32 v[112:113], null, s6, v116, 0
	global_wb scope:SCOPE_SE
	s_wait_dscnt 0x0
	s_barrier_signal -1
	s_barrier_wait -1
	global_inv scope:SCOPE_SE
	v_mov_b32_e32 v12, v113
	s_delay_alu instid0(VALU_DEP_1) | instskip(SKIP_2) | instid1(VALU_DEP_2)
	v_mad_co_u64_u32 v[15:16], null, s7, v116, v[12:13]
	v_mad_co_u64_u32 v[12:13], null, s5, v230, v[13:14]
	s_mul_u64 s[6:7], s[4:5], 0xf0
	v_mov_b32_e32 v113, v15
	ds_load_b128 v[4:7], v255
	ds_load_b128 v[8:11], v255 offset:240
	ds_load_b128 v[15:18], v255 offset:480
	v_mov_b32_e32 v115, v12
	ds_load_b128 v[19:22], v255 offset:720
	ds_load_b128 v[23:26], v255 offset:960
	;; [unrolled: 1-line block ×4, first 2 shown]
	v_lshlrev_b64_e32 v[12:13], 4, v[112:113]
	v_lshlrev_b64_e32 v[38:39], 4, v[114:115]
	s_delay_alu instid0(VALU_DEP_2) | instskip(SKIP_1) | instid1(VALU_DEP_3)
	v_add_co_u32 v2, s0, s10, v12
	s_wait_alu 0xf1ff
	v_add_co_ci_u32_e64 v3, s0, s11, v13, s0
	s_delay_alu instid0(VALU_DEP_2)
	v_add_co_u32 v12, s0, v2, v38
	ds_load_b128 v[35:38], v255 offset:1680
	ds_load_b128 v[52:55], v255 offset:1920
	;; [unrolled: 1-line block ×6, first 2 shown]
	s_clause 0x1
	scratch_load_b128 v[116:119], off, off offset:48 th:TH_LOAD_LU
	scratch_load_b128 v[140:143], off, off offset:232 th:TH_LOAD_LU
	s_wait_alu 0xf1ff
	v_add_co_ci_u32_e64 v13, s0, v3, v39, s0
	s_wait_alu 0xfffe
	v_add_co_u32 v110, s0, v12, s6
	s_wait_alu 0xf1ff
	s_delay_alu instid0(VALU_DEP_2) | instskip(NEXT) | instid1(VALU_DEP_2)
	v_add_co_ci_u32_e64 v111, s0, s7, v13, s0
	v_add_co_u32 v112, s0, v110, s6
	s_wait_alu 0xf1ff
	s_delay_alu instid0(VALU_DEP_2) | instskip(NEXT) | instid1(VALU_DEP_2)
	v_add_co_ci_u32_e64 v113, s0, s7, v111, s0
	v_add_co_u32 v114, s0, v112, s6
	s_wait_alu 0xf1ff
	s_delay_alu instid0(VALU_DEP_2)
	v_add_co_ci_u32_e64 v115, s0, s7, v113, s0
	s_wait_loadcnt_dscnt 0x10c
	v_mul_f64_e32 v[0:1], v[118:119], v[6:7]
	v_mul_f64_e32 v[39:40], v[118:119], v[4:5]
	scratch_load_b128 v[118:121], off, off offset:64 th:TH_LOAD_LU ; 16-byte Folded Reload
	s_wait_loadcnt_dscnt 0x102
	v_mul_f64_e32 v[98:99], v[142:143], v[62:63]
	v_mul_f64_e32 v[100:101], v[142:143], v[60:61]
	scratch_load_b128 v[142:145], off, off offset:248 th:TH_LOAD_LU ; 16-byte Folded Reload
	v_fma_f64 v[0:1], v[116:117], v[4:5], v[0:1]
	v_fma_f64 v[6:7], v[116:117], v[6:7], -v[39:40]
	s_delay_alu instid0(VALU_DEP_2) | instskip(NEXT) | instid1(VALU_DEP_2)
	v_mul_f64_e32 v[4:5], s[2:3], v[0:1]
	v_mul_f64_e32 v[6:7], s[2:3], v[6:7]
	s_wait_loadcnt 0x1
	v_mul_f64_e32 v[41:42], v[120:121], v[10:11]
	v_mul_f64_e32 v[43:44], v[120:121], v[8:9]
	scratch_load_b128 v[120:123], off, off offset:80 th:TH_LOAD_LU ; 16-byte Folded Reload
	s_wait_loadcnt_dscnt 0x100
	v_mul_f64_e32 v[106:107], v[144:145], v[70:71]
	v_mul_f64_e32 v[108:109], v[144:145], v[68:69]
	v_fma_f64 v[8:9], v[118:119], v[8:9], v[41:42]
	v_fma_f64 v[10:11], v[118:119], v[10:11], -v[43:44]
	s_delay_alu instid0(VALU_DEP_2) | instskip(NEXT) | instid1(VALU_DEP_2)
	v_mul_f64_e32 v[8:9], s[2:3], v[8:9]
	v_mul_f64_e32 v[10:11], s[2:3], v[10:11]
	s_wait_loadcnt 0x0
	v_mul_f64_e32 v[45:46], v[122:123], v[17:18]
	v_mul_f64_e32 v[47:48], v[122:123], v[15:16]
	scratch_load_b128 v[122:125], off, off offset:96 th:TH_LOAD_LU ; 16-byte Folded Reload
	v_fma_f64 v[15:16], v[120:121], v[15:16], v[45:46]
	v_fma_f64 v[17:18], v[120:121], v[17:18], -v[47:48]
	v_fma_f64 v[47:48], v[140:141], v[60:61], v[98:99]
	s_delay_alu instid0(VALU_DEP_3) | instskip(NEXT) | instid1(VALU_DEP_3)
	v_mul_f64_e32 v[15:16], s[2:3], v[15:16]
	v_mul_f64_e32 v[17:18], s[2:3], v[17:18]
	s_delay_alu instid0(VALU_DEP_3)
	v_mul_f64_e32 v[47:48], s[2:3], v[47:48]
	s_wait_loadcnt 0x0
	v_mul_f64_e32 v[49:50], v[124:125], v[21:22]
	v_mul_f64_e32 v[72:73], v[124:125], v[19:20]
	scratch_load_b128 v[124:127], off, off offset:112 th:TH_LOAD_LU ; 16-byte Folded Reload
	v_fma_f64 v[19:20], v[122:123], v[19:20], v[49:50]
	v_fma_f64 v[21:22], v[122:123], v[21:22], -v[72:73]
	v_fma_f64 v[49:50], v[140:141], v[62:63], -v[100:101]
	s_delay_alu instid0(VALU_DEP_3) | instskip(NEXT) | instid1(VALU_DEP_3)
	v_mul_f64_e32 v[19:20], s[2:3], v[19:20]
	v_mul_f64_e32 v[21:22], s[2:3], v[21:22]
	s_delay_alu instid0(VALU_DEP_3)
	v_mul_f64_e32 v[49:50], s[2:3], v[49:50]
	s_wait_loadcnt 0x0
	v_mul_f64_e32 v[74:75], v[126:127], v[25:26]
	v_mul_f64_e32 v[76:77], v[126:127], v[23:24]
	scratch_load_b128 v[126:129], off, off offset:128 th:TH_LOAD_LU ; 16-byte Folded Reload
	v_fma_f64 v[23:24], v[124:125], v[23:24], v[74:75]
	v_fma_f64 v[25:26], v[124:125], v[25:26], -v[76:77]
	s_delay_alu instid0(VALU_DEP_2) | instskip(NEXT) | instid1(VALU_DEP_2)
	v_mul_f64_e32 v[23:24], s[2:3], v[23:24]
	v_mul_f64_e32 v[25:26], s[2:3], v[25:26]
	s_wait_loadcnt 0x0
	v_mul_f64_e32 v[78:79], v[128:129], v[29:30]
	v_mul_f64_e32 v[80:81], v[128:129], v[27:28]
	scratch_load_b128 v[128:131], off, off offset:144 th:TH_LOAD_LU ; 16-byte Folded Reload
	v_fma_f64 v[27:28], v[126:127], v[27:28], v[78:79]
	v_fma_f64 v[29:30], v[126:127], v[29:30], -v[80:81]
	s_delay_alu instid0(VALU_DEP_2) | instskip(NEXT) | instid1(VALU_DEP_2)
	v_mul_f64_e32 v[27:28], s[2:3], v[27:28]
	v_mul_f64_e32 v[29:30], s[2:3], v[29:30]
	s_wait_loadcnt 0x0
	v_mul_f64_e32 v[82:83], v[130:131], v[33:34]
	v_mul_f64_e32 v[84:85], v[130:131], v[31:32]
	scratch_load_b128 v[130:133], off, off offset:160 th:TH_LOAD_LU ; 16-byte Folded Reload
	v_fma_f64 v[31:32], v[128:129], v[31:32], v[82:83]
	v_fma_f64 v[33:34], v[128:129], v[33:34], -v[84:85]
	s_delay_alu instid0(VALU_DEP_2) | instskip(NEXT) | instid1(VALU_DEP_2)
	v_mul_f64_e32 v[31:32], s[2:3], v[31:32]
	v_mul_f64_e32 v[33:34], s[2:3], v[33:34]
	s_wait_loadcnt 0x0
	v_mul_f64_e32 v[86:87], v[132:133], v[37:38]
	v_mul_f64_e32 v[88:89], v[132:133], v[35:36]
	scratch_load_b128 v[132:135], off, off offset:176 th:TH_LOAD_LU ; 16-byte Folded Reload
	v_fma_f64 v[35:36], v[130:131], v[35:36], v[86:87]
	v_fma_f64 v[37:38], v[130:131], v[37:38], -v[88:89]
	s_delay_alu instid0(VALU_DEP_2) | instskip(NEXT) | instid1(VALU_DEP_2)
	v_mul_f64_e32 v[35:36], s[2:3], v[35:36]
	v_mul_f64_e32 v[37:38], s[2:3], v[37:38]
	s_wait_loadcnt 0x0
	v_mul_f64_e32 v[90:91], v[134:135], v[54:55]
	v_mul_f64_e32 v[92:93], v[134:135], v[52:53]
	scratch_load_b128 v[134:137], off, off offset:192 th:TH_LOAD_LU ; 16-byte Folded Reload
	v_fma_f64 v[39:40], v[132:133], v[52:53], v[90:91]
	v_fma_f64 v[41:42], v[132:133], v[54:55], -v[92:93]
	s_delay_alu instid0(VALU_DEP_2) | instskip(NEXT) | instid1(VALU_DEP_2)
	v_mul_f64_e32 v[39:40], s[2:3], v[39:40]
	v_mul_f64_e32 v[41:42], s[2:3], v[41:42]
	s_wait_loadcnt 0x0
	v_mul_f64_e32 v[94:95], v[136:137], v[58:59]
	v_mul_f64_e32 v[96:97], v[136:137], v[56:57]
	scratch_load_b128 v[136:139], off, off offset:216 th:TH_LOAD_LU ; 16-byte Folded Reload
	v_fma_f64 v[43:44], v[134:135], v[56:57], v[94:95]
	v_fma_f64 v[45:46], v[134:135], v[58:59], -v[96:97]
	v_fma_f64 v[55:56], v[142:143], v[68:69], v[106:107]
	v_fma_f64 v[57:58], v[142:143], v[70:71], -v[108:109]
	v_add_co_u32 v59, s0, v114, s6
	s_wait_alu 0xf1ff
	v_add_co_ci_u32_e64 v60, s0, s7, v115, s0
	s_delay_alu instid0(VALU_DEP_2) | instskip(SKIP_1) | instid1(VALU_DEP_2)
	v_add_co_u32 v61, s0, v59, s6
	s_wait_alu 0xf1ff
	v_add_co_ci_u32_e64 v62, s0, s7, v60, s0
	s_delay_alu instid0(VALU_DEP_2)
	v_add_co_u32 v63, s0, v61, s6
	v_mul_f64_e32 v[43:44], s[2:3], v[43:44]
	v_mul_f64_e32 v[45:46], s[2:3], v[45:46]
	;; [unrolled: 1-line block ×4, first 2 shown]
	s_wait_loadcnt 0x0
	v_mul_f64_e32 v[102:103], v[138:139], v[66:67]
	v_mul_f64_e32 v[104:105], v[138:139], v[64:65]
	s_delay_alu instid0(VALU_DEP_2) | instskip(NEXT) | instid1(VALU_DEP_2)
	v_fma_f64 v[51:52], v[136:137], v[64:65], v[102:103]
	v_fma_f64 v[53:54], v[136:137], v[66:67], -v[104:105]
	s_wait_alu 0xf1ff
	v_add_co_ci_u32_e64 v64, s0, s7, v62, s0
	v_add_co_u32 v65, s0, v63, s6
	s_wait_alu 0xf1ff
	s_delay_alu instid0(VALU_DEP_2) | instskip(NEXT) | instid1(VALU_DEP_2)
	v_add_co_ci_u32_e64 v66, s0, s7, v64, s0
	v_add_co_u32 v67, s0, v65, s6
	s_wait_alu 0xf1ff
	s_delay_alu instid0(VALU_DEP_2) | instskip(NEXT) | instid1(VALU_DEP_2)
	;; [unrolled: 4-line block ×5, first 2 shown]
	v_add_co_ci_u32_e64 v74, s0, s7, v72, s0
	v_add_co_u32 v0, s0, v73, s6
	s_wait_alu 0xf1ff
	s_delay_alu instid0(VALU_DEP_2)
	v_add_co_ci_u32_e64 v1, s0, s7, v74, s0
	v_mul_f64_e32 v[51:52], s[2:3], v[51:52]
	v_mul_f64_e32 v[53:54], s[2:3], v[53:54]
	s_clause 0x4
	global_store_b128 v[12:13], v[4:7], off
	global_store_b128 v[110:111], v[8:11], off
	;; [unrolled: 1-line block ×13, first 2 shown]
	s_and_b32 exec_lo, exec_lo, vcc_lo
	s_cbranch_execz .LBB0_15
; %bb.14:
	global_load_b128 v[4:7], v[228:229], off offset:208
	ds_load_b128 v[8:11], v14 offset:208
	v_mad_co_u64_u32 v[0:1], null, 0xfffff590, s4, v[0:1]
	s_mul_i32 s0, s5, 0xfffff590
	s_wait_alu 0xfffe
	s_sub_co_i32 s0, s0, s4
	s_wait_alu 0xfffe
	s_delay_alu instid0(VALU_DEP_1) | instskip(SKIP_4) | instid1(VALU_DEP_2)
	v_add_nc_u32_e32 v1, s0, v1
	s_mul_u64 s[0:1], s[4:5], 0x1e0
	s_wait_loadcnt_dscnt 0x0
	v_mul_f64_e32 v[12:13], v[10:11], v[6:7]
	v_mul_f64_e32 v[6:7], v[8:9], v[6:7]
	v_fma_f64 v[8:9], v[8:9], v[4:5], v[12:13]
	s_delay_alu instid0(VALU_DEP_2) | instskip(NEXT) | instid1(VALU_DEP_2)
	v_fma_f64 v[6:7], v[4:5], v[10:11], -v[6:7]
	v_mul_f64_e32 v[4:5], s[2:3], v[8:9]
	s_delay_alu instid0(VALU_DEP_2)
	v_mul_f64_e32 v[6:7], s[2:3], v[6:7]
	global_store_b128 v[0:1], v[4:7], off
	global_load_b128 v[4:7], v[228:229], off offset:448
	ds_load_b128 v[8:11], v255 offset:448
	ds_load_b128 v[12:15], v255 offset:688
	s_wait_loadcnt_dscnt 0x1
	v_mul_f64_e32 v[16:17], v[10:11], v[6:7]
	v_mul_f64_e32 v[6:7], v[8:9], v[6:7]
	s_delay_alu instid0(VALU_DEP_2) | instskip(SKIP_3) | instid1(VALU_DEP_2)
	v_fma_f64 v[8:9], v[8:9], v[4:5], v[16:17]
	scratch_load_b32 v16, off, off offset:284 th:TH_LOAD_LU ; 4-byte Folded Reload
	v_fma_f64 v[6:7], v[4:5], v[10:11], -v[6:7]
	v_mul_f64_e32 v[4:5], s[2:3], v[8:9]
	v_mul_f64_e32 v[6:7], s[2:3], v[6:7]
	s_wait_loadcnt 0x0
	v_mad_co_u64_u32 v[10:11], null, s4, v16, 0
	s_delay_alu instid0(VALU_DEP_1) | instskip(NEXT) | instid1(VALU_DEP_1)
	v_mov_b32_e32 v8, v11
	v_mad_co_u64_u32 v[8:9], null, s5, v16, v[8:9]
	s_delay_alu instid0(VALU_DEP_1) | instskip(NEXT) | instid1(VALU_DEP_1)
	v_mov_b32_e32 v11, v8
	v_lshlrev_b64_e32 v[8:9], 4, v[10:11]
	s_delay_alu instid0(VALU_DEP_1) | instskip(SKIP_1) | instid1(VALU_DEP_2)
	v_add_co_u32 v8, vcc_lo, v2, v8
	s_wait_alu 0xfffd
	v_add_co_ci_u32_e32 v9, vcc_lo, v3, v9, vcc_lo
	s_wait_alu 0xfffe
	v_add_co_u32 v0, vcc_lo, v0, s0
	s_wait_alu 0xfffd
	v_add_co_ci_u32_e32 v1, vcc_lo, s1, v1, vcc_lo
	global_store_b128 v[8:9], v[4:7], off
	global_load_b128 v[4:7], v[228:229], off offset:688
	s_wait_loadcnt_dscnt 0x0
	v_mul_f64_e32 v[8:9], v[14:15], v[6:7]
	v_mul_f64_e32 v[6:7], v[12:13], v[6:7]
	s_delay_alu instid0(VALU_DEP_2) | instskip(NEXT) | instid1(VALU_DEP_2)
	v_fma_f64 v[8:9], v[12:13], v[4:5], v[8:9]
	v_fma_f64 v[6:7], v[4:5], v[14:15], -v[6:7]
	s_delay_alu instid0(VALU_DEP_2) | instskip(NEXT) | instid1(VALU_DEP_2)
	v_mul_f64_e32 v[4:5], s[2:3], v[8:9]
	v_mul_f64_e32 v[6:7], s[2:3], v[6:7]
	global_store_b128 v[0:1], v[4:7], off
	global_load_b128 v[4:7], v[228:229], off offset:928
	ds_load_b128 v[8:11], v255 offset:928
	ds_load_b128 v[12:15], v255 offset:1168
	s_wait_loadcnt_dscnt 0x1
	v_mul_f64_e32 v[16:17], v[10:11], v[6:7]
	v_mul_f64_e32 v[6:7], v[8:9], v[6:7]
	s_delay_alu instid0(VALU_DEP_2) | instskip(SKIP_3) | instid1(VALU_DEP_2)
	v_fma_f64 v[8:9], v[8:9], v[4:5], v[16:17]
	scratch_load_b32 v16, off, off offset:280 th:TH_LOAD_LU ; 4-byte Folded Reload
	v_fma_f64 v[6:7], v[4:5], v[10:11], -v[6:7]
	v_mul_f64_e32 v[4:5], s[2:3], v[8:9]
	v_mul_f64_e32 v[6:7], s[2:3], v[6:7]
	s_wait_loadcnt 0x0
	v_mad_co_u64_u32 v[10:11], null, s4, v16, 0
	s_delay_alu instid0(VALU_DEP_1) | instskip(NEXT) | instid1(VALU_DEP_1)
	v_mov_b32_e32 v8, v11
	v_mad_co_u64_u32 v[8:9], null, s5, v16, v[8:9]
	s_delay_alu instid0(VALU_DEP_1) | instskip(NEXT) | instid1(VALU_DEP_1)
	v_mov_b32_e32 v11, v8
	v_lshlrev_b64_e32 v[8:9], 4, v[10:11]
	s_delay_alu instid0(VALU_DEP_1) | instskip(SKIP_1) | instid1(VALU_DEP_2)
	v_add_co_u32 v8, vcc_lo, v2, v8
	s_wait_alu 0xfffd
	v_add_co_ci_u32_e32 v9, vcc_lo, v3, v9, vcc_lo
	v_add_co_u32 v0, vcc_lo, v0, s0
	s_wait_alu 0xfffd
	v_add_co_ci_u32_e32 v1, vcc_lo, s1, v1, vcc_lo
	global_store_b128 v[8:9], v[4:7], off
	global_load_b128 v[4:7], v[228:229], off offset:1168
	s_wait_loadcnt_dscnt 0x0
	v_mul_f64_e32 v[8:9], v[14:15], v[6:7]
	v_mul_f64_e32 v[6:7], v[12:13], v[6:7]
	s_delay_alu instid0(VALU_DEP_2) | instskip(NEXT) | instid1(VALU_DEP_2)
	v_fma_f64 v[8:9], v[12:13], v[4:5], v[8:9]
	v_fma_f64 v[6:7], v[4:5], v[14:15], -v[6:7]
	s_delay_alu instid0(VALU_DEP_2) | instskip(NEXT) | instid1(VALU_DEP_2)
	v_mul_f64_e32 v[4:5], s[2:3], v[8:9]
	v_mul_f64_e32 v[6:7], s[2:3], v[6:7]
	global_store_b128 v[0:1], v[4:7], off
	global_load_b128 v[4:7], v[228:229], off offset:1408
	ds_load_b128 v[8:11], v255 offset:1408
	ds_load_b128 v[12:15], v255 offset:1648
	s_wait_loadcnt_dscnt 0x1
	v_mul_f64_e32 v[16:17], v[10:11], v[6:7]
	v_mul_f64_e32 v[6:7], v[8:9], v[6:7]
	s_delay_alu instid0(VALU_DEP_2) | instskip(SKIP_3) | instid1(VALU_DEP_2)
	v_fma_f64 v[8:9], v[8:9], v[4:5], v[16:17]
	scratch_load_b32 v16, off, off offset:276 th:TH_LOAD_LU ; 4-byte Folded Reload
	v_fma_f64 v[6:7], v[4:5], v[10:11], -v[6:7]
	v_mul_f64_e32 v[4:5], s[2:3], v[8:9]
	v_mul_f64_e32 v[6:7], s[2:3], v[6:7]
	s_wait_loadcnt 0x0
	v_mad_co_u64_u32 v[10:11], null, s4, v16, 0
	s_delay_alu instid0(VALU_DEP_1) | instskip(NEXT) | instid1(VALU_DEP_1)
	v_mov_b32_e32 v8, v11
	v_mad_co_u64_u32 v[8:9], null, s5, v16, v[8:9]
	s_delay_alu instid0(VALU_DEP_1) | instskip(NEXT) | instid1(VALU_DEP_1)
	v_mov_b32_e32 v11, v8
	v_lshlrev_b64_e32 v[8:9], 4, v[10:11]
	s_delay_alu instid0(VALU_DEP_1) | instskip(SKIP_1) | instid1(VALU_DEP_2)
	v_add_co_u32 v8, vcc_lo, v2, v8
	s_wait_alu 0xfffd
	v_add_co_ci_u32_e32 v9, vcc_lo, v3, v9, vcc_lo
	;; [unrolled: 39-line block ×4, first 2 shown]
	v_add_co_u32 v16, vcc_lo, v0, s0
	s_wait_alu 0xfffd
	v_add_co_ci_u32_e32 v17, vcc_lo, s1, v1, vcc_lo
	global_store_b128 v[8:9], v[4:7], off
	global_load_b128 v[4:7], v[228:229], off offset:2608
	s_wait_loadcnt_dscnt 0x0
	v_mul_f64_e32 v[8:9], v[14:15], v[6:7]
	v_mul_f64_e32 v[6:7], v[12:13], v[6:7]
	s_delay_alu instid0(VALU_DEP_2) | instskip(NEXT) | instid1(VALU_DEP_2)
	v_fma_f64 v[8:9], v[12:13], v[4:5], v[8:9]
	v_fma_f64 v[6:7], v[4:5], v[14:15], -v[6:7]
	s_delay_alu instid0(VALU_DEP_2) | instskip(NEXT) | instid1(VALU_DEP_2)
	v_mul_f64_e32 v[4:5], s[2:3], v[8:9]
	v_mul_f64_e32 v[6:7], s[2:3], v[6:7]
	global_store_b128 v[16:17], v[4:7], off
	global_load_b128 v[4:7], v[228:229], off offset:2848
	ds_load_b128 v[8:11], v255 offset:2848
	ds_load_b128 v[12:15], v255 offset:3088
	s_wait_loadcnt_dscnt 0x1
	v_mul_f64_e32 v[0:1], v[10:11], v[6:7]
	v_mul_f64_e32 v[6:7], v[8:9], v[6:7]
	s_delay_alu instid0(VALU_DEP_2) | instskip(NEXT) | instid1(VALU_DEP_2)
	v_fma_f64 v[0:1], v[8:9], v[4:5], v[0:1]
	v_fma_f64 v[6:7], v[4:5], v[10:11], -v[6:7]
	scratch_load_b32 v10, off, off offset:264 th:TH_LOAD_LU ; 4-byte Folded Reload
	v_mul_f64_e32 v[4:5], s[2:3], v[0:1]
	v_mul_f64_e32 v[6:7], s[2:3], v[6:7]
	s_wait_loadcnt 0x0
	v_mad_co_u64_u32 v[8:9], null, s4, v10, 0
	s_delay_alu instid0(VALU_DEP_1) | instskip(NEXT) | instid1(VALU_DEP_1)
	v_mov_b32_e32 v0, v9
	v_mad_co_u64_u32 v[0:1], null, s5, v10, v[0:1]
	s_delay_alu instid0(VALU_DEP_1) | instskip(NEXT) | instid1(VALU_DEP_1)
	v_mov_b32_e32 v9, v0
	v_lshlrev_b64_e32 v[0:1], 4, v[8:9]
	s_delay_alu instid0(VALU_DEP_1) | instskip(SKIP_1) | instid1(VALU_DEP_2)
	v_add_co_u32 v0, vcc_lo, v2, v0
	s_wait_alu 0xfffd
	v_add_co_ci_u32_e32 v1, vcc_lo, v3, v1, vcc_lo
	global_store_b128 v[0:1], v[4:7], off
	global_load_b128 v[0:3], v[228:229], off offset:3088
	s_wait_loadcnt_dscnt 0x0
	v_mul_f64_e32 v[4:5], v[14:15], v[2:3]
	v_mul_f64_e32 v[2:3], v[12:13], v[2:3]
	s_delay_alu instid0(VALU_DEP_2) | instskip(NEXT) | instid1(VALU_DEP_2)
	v_fma_f64 v[4:5], v[12:13], v[0:1], v[4:5]
	v_fma_f64 v[2:3], v[0:1], v[14:15], -v[2:3]
	s_delay_alu instid0(VALU_DEP_2) | instskip(NEXT) | instid1(VALU_DEP_2)
	v_mul_f64_e32 v[0:1], s[2:3], v[4:5]
	v_mul_f64_e32 v[2:3], s[2:3], v[2:3]
	v_add_co_u32 v4, vcc_lo, v16, s0
	s_wait_alu 0xfffd
	v_add_co_ci_u32_e32 v5, vcc_lo, s1, v17, vcc_lo
	global_store_b128 v[4:5], v[0:3], off
.LBB0_15:
	s_nop 0
	s_sendmsg sendmsg(MSG_DEALLOC_VGPRS)
	s_endpgm
	.section	.rodata,"a",@progbits
	.p2align	6, 0x0
	.amdhsa_kernel bluestein_single_fwd_len195_dim1_dp_op_CI_CI
		.amdhsa_group_segment_fixed_size 12480
		.amdhsa_private_segment_fixed_size 296
		.amdhsa_kernarg_size 104
		.amdhsa_user_sgpr_count 2
		.amdhsa_user_sgpr_dispatch_ptr 0
		.amdhsa_user_sgpr_queue_ptr 0
		.amdhsa_user_sgpr_kernarg_segment_ptr 1
		.amdhsa_user_sgpr_dispatch_id 0
		.amdhsa_user_sgpr_private_segment_size 0
		.amdhsa_wavefront_size32 1
		.amdhsa_uses_dynamic_stack 0
		.amdhsa_enable_private_segment 1
		.amdhsa_system_sgpr_workgroup_id_x 1
		.amdhsa_system_sgpr_workgroup_id_y 0
		.amdhsa_system_sgpr_workgroup_id_z 0
		.amdhsa_system_sgpr_workgroup_info 0
		.amdhsa_system_vgpr_workitem_id 0
		.amdhsa_next_free_vgpr 256
		.amdhsa_next_free_sgpr 48
		.amdhsa_reserve_vcc 1
		.amdhsa_float_round_mode_32 0
		.amdhsa_float_round_mode_16_64 0
		.amdhsa_float_denorm_mode_32 3
		.amdhsa_float_denorm_mode_16_64 3
		.amdhsa_fp16_overflow 0
		.amdhsa_workgroup_processor_mode 1
		.amdhsa_memory_ordered 1
		.amdhsa_forward_progress 0
		.amdhsa_round_robin_scheduling 0
		.amdhsa_exception_fp_ieee_invalid_op 0
		.amdhsa_exception_fp_denorm_src 0
		.amdhsa_exception_fp_ieee_div_zero 0
		.amdhsa_exception_fp_ieee_overflow 0
		.amdhsa_exception_fp_ieee_underflow 0
		.amdhsa_exception_fp_ieee_inexact 0
		.amdhsa_exception_int_div_zero 0
	.end_amdhsa_kernel
	.text
.Lfunc_end0:
	.size	bluestein_single_fwd_len195_dim1_dp_op_CI_CI, .Lfunc_end0-bluestein_single_fwd_len195_dim1_dp_op_CI_CI
                                        ; -- End function
	.section	.AMDGPU.csdata,"",@progbits
; Kernel info:
; codeLenInByte = 26240
; NumSgprs: 50
; NumVgprs: 256
; ScratchSize: 296
; MemoryBound: 0
; FloatMode: 240
; IeeeMode: 1
; LDSByteSize: 12480 bytes/workgroup (compile time only)
; SGPRBlocks: 6
; VGPRBlocks: 31
; NumSGPRsForWavesPerEU: 50
; NumVGPRsForWavesPerEU: 256
; Occupancy: 5
; WaveLimiterHint : 1
; COMPUTE_PGM_RSRC2:SCRATCH_EN: 1
; COMPUTE_PGM_RSRC2:USER_SGPR: 2
; COMPUTE_PGM_RSRC2:TRAP_HANDLER: 0
; COMPUTE_PGM_RSRC2:TGID_X_EN: 1
; COMPUTE_PGM_RSRC2:TGID_Y_EN: 0
; COMPUTE_PGM_RSRC2:TGID_Z_EN: 0
; COMPUTE_PGM_RSRC2:TIDIG_COMP_CNT: 0
	.text
	.p2alignl 7, 3214868480
	.fill 96, 4, 3214868480
	.type	__hip_cuid_bcfd1a363aa6c3d,@object ; @__hip_cuid_bcfd1a363aa6c3d
	.section	.bss,"aw",@nobits
	.globl	__hip_cuid_bcfd1a363aa6c3d
__hip_cuid_bcfd1a363aa6c3d:
	.byte	0                               ; 0x0
	.size	__hip_cuid_bcfd1a363aa6c3d, 1

	.ident	"AMD clang version 19.0.0git (https://github.com/RadeonOpenCompute/llvm-project roc-6.4.0 25133 c7fe45cf4b819c5991fe208aaa96edf142730f1d)"
	.section	".note.GNU-stack","",@progbits
	.addrsig
	.addrsig_sym __hip_cuid_bcfd1a363aa6c3d
	.amdgpu_metadata
---
amdhsa.kernels:
  - .args:
      - .actual_access:  read_only
        .address_space:  global
        .offset:         0
        .size:           8
        .value_kind:     global_buffer
      - .actual_access:  read_only
        .address_space:  global
        .offset:         8
        .size:           8
        .value_kind:     global_buffer
      - .actual_access:  read_only
        .address_space:  global
        .offset:         16
        .size:           8
        .value_kind:     global_buffer
      - .actual_access:  read_only
        .address_space:  global
        .offset:         24
        .size:           8
        .value_kind:     global_buffer
      - .actual_access:  read_only
        .address_space:  global
        .offset:         32
        .size:           8
        .value_kind:     global_buffer
      - .offset:         40
        .size:           8
        .value_kind:     by_value
      - .address_space:  global
        .offset:         48
        .size:           8
        .value_kind:     global_buffer
      - .address_space:  global
        .offset:         56
        .size:           8
        .value_kind:     global_buffer
      - .address_space:  global
        .offset:         64
        .size:           8
        .value_kind:     global_buffer
      - .address_space:  global
        .offset:         72
        .size:           8
        .value_kind:     global_buffer
      - .offset:         80
        .size:           4
        .value_kind:     by_value
      - .address_space:  global
        .offset:         88
        .size:           8
        .value_kind:     global_buffer
      - .address_space:  global
        .offset:         96
        .size:           8
        .value_kind:     global_buffer
    .group_segment_fixed_size: 12480
    .kernarg_segment_align: 8
    .kernarg_segment_size: 104
    .language:       OpenCL C
    .language_version:
      - 2
      - 0
    .max_flat_workgroup_size: 52
    .name:           bluestein_single_fwd_len195_dim1_dp_op_CI_CI
    .private_segment_fixed_size: 296
    .sgpr_count:     50
    .sgpr_spill_count: 0
    .symbol:         bluestein_single_fwd_len195_dim1_dp_op_CI_CI.kd
    .uniform_work_group_size: 1
    .uses_dynamic_stack: false
    .vgpr_count:     256
    .vgpr_spill_count: 85
    .wavefront_size: 32
    .workgroup_processor_mode: 1
amdhsa.target:   amdgcn-amd-amdhsa--gfx1201
amdhsa.version:
  - 1
  - 2
...

	.end_amdgpu_metadata
